;; amdgpu-corpus repo=ROCm/rocSPARSE kind=compiled arch=gfx906 opt=O3
	.amdgcn_target "amdgcn-amd-amdhsa--gfx906"
	.amdhsa_code_object_version 6
	.section	.text._ZN9rocsparseL23nnz_total_device_kernelEiPKiPi,"axG",@progbits,_ZN9rocsparseL23nnz_total_device_kernelEiPKiPi,comdat
	.globl	_ZN9rocsparseL23nnz_total_device_kernelEiPKiPi ; -- Begin function _ZN9rocsparseL23nnz_total_device_kernelEiPKiPi
	.p2align	8
	.type	_ZN9rocsparseL23nnz_total_device_kernelEiPKiPi,@function
_ZN9rocsparseL23nnz_total_device_kernelEiPKiPi: ; @_ZN9rocsparseL23nnz_total_device_kernelEiPKiPi
; %bb.0:
	s_cmp_lg_u32 0, 0
	s_cbranch_scc0 .LBB0_2
; %bb.1:
	s_endpgm
.LBB0_2:
	s_load_dword s6, s[4:5], 0x0
	s_load_dwordx4 s[0:3], s[4:5], 0x8
	v_mov_b32_e32 v0, 0
	s_waitcnt lgkmcnt(0)
	s_ashr_i32 s7, s6, 31
	s_lshl_b64 s[4:5], s[6:7], 2
	s_add_u32 s4, s0, s4
	s_addc_u32 s5, s1, s5
	s_load_dword s6, s[4:5], 0x0
	s_load_dword s7, s[0:1], 0x0
	s_waitcnt lgkmcnt(0)
	s_sub_i32 s0, s6, s7
	v_mov_b32_e32 v1, s0
	global_store_dword v0, v1, s[2:3]
	s_endpgm
	.section	.rodata,"a",@progbits
	.p2align	6, 0x0
	.amdhsa_kernel _ZN9rocsparseL23nnz_total_device_kernelEiPKiPi
		.amdhsa_group_segment_fixed_size 0
		.amdhsa_private_segment_fixed_size 0
		.amdhsa_kernarg_size 24
		.amdhsa_user_sgpr_count 6
		.amdhsa_user_sgpr_private_segment_buffer 1
		.amdhsa_user_sgpr_dispatch_ptr 0
		.amdhsa_user_sgpr_queue_ptr 0
		.amdhsa_user_sgpr_kernarg_segment_ptr 1
		.amdhsa_user_sgpr_dispatch_id 0
		.amdhsa_user_sgpr_flat_scratch_init 0
		.amdhsa_user_sgpr_private_segment_size 0
		.amdhsa_uses_dynamic_stack 0
		.amdhsa_system_sgpr_private_segment_wavefront_offset 0
		.amdhsa_system_sgpr_workgroup_id_x 1
		.amdhsa_system_sgpr_workgroup_id_y 0
		.amdhsa_system_sgpr_workgroup_id_z 0
		.amdhsa_system_sgpr_workgroup_info 0
		.amdhsa_system_vgpr_workitem_id 0
		.amdhsa_next_free_vgpr 2
		.amdhsa_next_free_sgpr 8
		.amdhsa_reserve_vcc 0
		.amdhsa_reserve_flat_scratch 0
		.amdhsa_float_round_mode_32 0
		.amdhsa_float_round_mode_16_64 0
		.amdhsa_float_denorm_mode_32 3
		.amdhsa_float_denorm_mode_16_64 3
		.amdhsa_dx10_clamp 1
		.amdhsa_ieee_mode 1
		.amdhsa_fp16_overflow 0
		.amdhsa_exception_fp_ieee_invalid_op 0
		.amdhsa_exception_fp_denorm_src 0
		.amdhsa_exception_fp_ieee_div_zero 0
		.amdhsa_exception_fp_ieee_overflow 0
		.amdhsa_exception_fp_ieee_underflow 0
		.amdhsa_exception_fp_ieee_inexact 0
		.amdhsa_exception_int_div_zero 0
	.end_amdhsa_kernel
	.section	.text._ZN9rocsparseL23nnz_total_device_kernelEiPKiPi,"axG",@progbits,_ZN9rocsparseL23nnz_total_device_kernelEiPKiPi,comdat
.Lfunc_end0:
	.size	_ZN9rocsparseL23nnz_total_device_kernelEiPKiPi, .Lfunc_end0-_ZN9rocsparseL23nnz_total_device_kernelEiPKiPi
                                        ; -- End function
	.set _ZN9rocsparseL23nnz_total_device_kernelEiPKiPi.num_vgpr, 2
	.set _ZN9rocsparseL23nnz_total_device_kernelEiPKiPi.num_agpr, 0
	.set _ZN9rocsparseL23nnz_total_device_kernelEiPKiPi.numbered_sgpr, 8
	.set _ZN9rocsparseL23nnz_total_device_kernelEiPKiPi.num_named_barrier, 0
	.set _ZN9rocsparseL23nnz_total_device_kernelEiPKiPi.private_seg_size, 0
	.set _ZN9rocsparseL23nnz_total_device_kernelEiPKiPi.uses_vcc, 0
	.set _ZN9rocsparseL23nnz_total_device_kernelEiPKiPi.uses_flat_scratch, 0
	.set _ZN9rocsparseL23nnz_total_device_kernelEiPKiPi.has_dyn_sized_stack, 0
	.set _ZN9rocsparseL23nnz_total_device_kernelEiPKiPi.has_recursion, 0
	.set _ZN9rocsparseL23nnz_total_device_kernelEiPKiPi.has_indirect_call, 0
	.section	.AMDGPU.csdata,"",@progbits
; Kernel info:
; codeLenInByte = 92
; TotalNumSgprs: 12
; NumVgprs: 2
; ScratchSize: 0
; MemoryBound: 0
; FloatMode: 240
; IeeeMode: 1
; LDSByteSize: 0 bytes/workgroup (compile time only)
; SGPRBlocks: 1
; VGPRBlocks: 0
; NumSGPRsForWavesPerEU: 12
; NumVGPRsForWavesPerEU: 2
; Occupancy: 10
; WaveLimiterHint : 0
; COMPUTE_PGM_RSRC2:SCRATCH_EN: 0
; COMPUTE_PGM_RSRC2:USER_SGPR: 6
; COMPUTE_PGM_RSRC2:TRAP_HANDLER: 0
; COMPUTE_PGM_RSRC2:TGID_X_EN: 1
; COMPUTE_PGM_RSRC2:TGID_Y_EN: 0
; COMPUTE_PGM_RSRC2:TGID_Z_EN: 0
; COMPUTE_PGM_RSRC2:TIDIG_COMP_CNT: 0
	.section	.text._ZN9rocsparseL26prune_dense2csr_nnz_kernelILi64ELi16EfEEviiPKT1_lNS_24const_host_device_scalarIS1_EEPib,"axG",@progbits,_ZN9rocsparseL26prune_dense2csr_nnz_kernelILi64ELi16EfEEviiPKT1_lNS_24const_host_device_scalarIS1_EEPib,comdat
	.globl	_ZN9rocsparseL26prune_dense2csr_nnz_kernelILi64ELi16EfEEviiPKT1_lNS_24const_host_device_scalarIS1_EEPib ; -- Begin function _ZN9rocsparseL26prune_dense2csr_nnz_kernelILi64ELi16EfEEviiPKT1_lNS_24const_host_device_scalarIS1_EEPib
	.p2align	8
	.type	_ZN9rocsparseL26prune_dense2csr_nnz_kernelILi64ELi16EfEEviiPKT1_lNS_24const_host_device_scalarIS1_EEPib,@function
_ZN9rocsparseL26prune_dense2csr_nnz_kernelILi64ELi16EfEEviiPKT1_lNS_24const_host_device_scalarIS1_EEPib: ; @_ZN9rocsparseL26prune_dense2csr_nnz_kernelILi64ELi16EfEEviiPKT1_lNS_24const_host_device_scalarIS1_EEPib
; %bb.0:
	s_load_dword s0, s[4:5], 0x28
	s_load_dwordx2 s[16:17], s[4:5], 0x8
	s_load_dwordx4 s[8:11], s[4:5], 0x10
	s_waitcnt lgkmcnt(0)
	s_bitcmp1_b32 s0, 0
	s_cselect_b64 s[0:1], -1, 0
	s_and_b64 vcc, exec, s[0:1]
	s_cbranch_vccnz .LBB1_2
; %bb.1:
	s_load_dword s10, s[10:11], 0x0
.LBB1_2:
	s_nop 0
	s_load_dword s0, s[4:5], 0x3c
	s_load_dwordx2 s[14:15], s[4:5], 0x0
	s_load_dwordx2 s[12:13], s[4:5], 0x20
	s_lshl_b32 s11, s6, 8
	v_mov_b32_e32 v5, 0
	s_waitcnt lgkmcnt(0)
	s_and_b32 s0, s0, 0xffff
	s_ashr_i32 s1, s15, 31
	v_mad_u32_u24 v3, v1, s0, v0
	s_lshr_b32 s0, s1, 26
	v_and_b32_e32 v4, 63, v3
	s_add_i32 s26, s15, s0
	v_lshrrev_b32_e32 v1, 4, v3
	v_or_b32_e32 v0, s11, v4
	s_andn2_b32 s26, s26, 63
	v_and_b32_e32 v6, 0x7ffffc, v1
	v_cmp_gt_i32_e32 vcc, s26, v6
	v_mov_b32_e32 v7, v5
	v_mov_b32_e32 v8, v5
	;; [unrolled: 1-line block ×3, first 2 shown]
	v_or_b32_e32 v10, 64, v0
	s_and_saveexec_b64 s[18:19], vcc
	s_cbranch_execz .LBB1_14
; %bb.3:
	v_lshrrev_b32_e32 v17, 6, v3
	v_lshlrev_b32_e32 v18, 2, v17
	v_or_b32_e32 v9, 2, v18
	v_mad_u64_u32 v[7:8], s[6:7], s8, v9, 0
	v_or_b32_e32 v11, 3, v18
	v_mad_u64_u32 v[13:14], s[6:7], s8, v11, 0
	v_mad_u64_u32 v[8:9], s[6:7], s9, v9, v[8:9]
	v_mov_b32_e32 v9, v14
	v_mad_u64_u32 v[14:15], s[6:7], s9, v11, v[9:10]
	v_lshlrev_b64 v[7:8], 2, v[7:8]
	v_mov_b32_e32 v12, s17
	v_add_co_u32_e64 v11, s[6:7], s16, v7
	v_addc_co_u32_e64 v12, s[6:7], v12, v8, s[6:7]
	v_mad_u64_u32 v[15:16], s[6:7], s8, v17, 0
	v_lshlrev_b64 v[7:8], 2, v[13:14]
	v_mov_b32_e32 v9, s17
	v_add_co_u32_e64 v13, s[6:7], s16, v7
	v_mov_b32_e32 v7, v16
	v_addc_co_u32_e64 v14, s[6:7], v9, v8, s[6:7]
	v_mad_u64_u32 v[7:8], s[6:7], s9, v17, v[7:8]
	v_mov_b32_e32 v8, s8
	v_mov_b32_e32 v9, s9
	v_mad_u64_u32 v[8:9], s[6:7], s8, v18, v[8:9]
	v_mov_b32_e32 v16, v7
	v_or_b32_e32 v1, 0x80, v0
	v_mov_b32_e32 v7, v9
	v_mad_u64_u32 v[17:18], s[6:7], s9, v18, v[7:8]
	v_lshlrev_b64 v[15:16], 4, v[15:16]
	v_cmp_gt_i32_e64 s[2:3], s14, v1
	v_or_b32_e32 v1, 0xc0, v0
	v_mov_b32_e32 v9, v17
	v_cmp_gt_i32_e64 s[4:5], s14, v1
	v_add_u32_e32 v1, s11, v4
	v_mov_b32_e32 v19, s17
	v_add_co_u32_e64 v15, s[6:7], s16, v15
	v_lshlrev_b64 v[7:8], 2, v[8:9]
	v_ashrrev_i32_e32 v2, 31, v1
	v_addc_co_u32_e64 v16, s[6:7], v19, v16, s[6:7]
	v_lshlrev_b64 v[1:2], 2, v[1:2]
	v_mov_b32_e32 v9, s17
	v_add_co_u32_e64 v17, s[6:7], s16, v7
	v_cmp_gt_i32_e32 vcc, s14, v0
	v_cmp_gt_i32_e64 s[0:1], s14, v10
	s_lshl_b64 s[20:21], s[8:9], 8
	v_addc_co_u32_e64 v18, s[6:7], v9, v8, s[6:7]
	v_mov_b32_e32 v7, v5
	v_mov_b32_e32 v8, v5
	;; [unrolled: 1-line block ×3, first 2 shown]
	s_mov_b64 s[22:23], 0
	s_branch .LBB1_5
.LBB1_4:                                ;   in Loop: Header=BB1_5 Depth=1
	s_or_b64 exec, exec, s[24:25]
	v_mov_b32_e32 v19, s21
	v_add_co_u32_e64 v11, s[6:7], s20, v11
	v_addc_co_u32_e64 v12, s[6:7], v12, v19, s[6:7]
	v_add_co_u32_e64 v13, s[6:7], s20, v13
	v_addc_co_u32_e64 v14, s[6:7], v14, v19, s[6:7]
	v_add_co_u32_e64 v15, s[6:7], s20, v15
	v_add_u32_e32 v6, 64, v6
	v_addc_co_u32_e64 v16, s[6:7], v16, v19, s[6:7]
	v_cmp_le_i32_e64 s[6:7], s26, v6
	s_or_b64 s[22:23], s[6:7], s[22:23]
	v_add_co_u32_e64 v17, s[6:7], s20, v17
	v_addc_co_u32_e64 v18, s[6:7], v18, v19, s[6:7]
	s_andn2_b64 exec, exec, s[22:23]
	s_cbranch_execz .LBB1_13
.LBB1_5:                                ; =>This Inner Loop Header: Depth=1
	s_and_saveexec_b64 s[24:25], vcc
	s_cbranch_execnz .LBB1_9
; %bb.6:                                ;   in Loop: Header=BB1_5 Depth=1
	s_or_b64 exec, exec, s[24:25]
	s_and_saveexec_b64 s[24:25], s[0:1]
	s_cbranch_execnz .LBB1_10
.LBB1_7:                                ;   in Loop: Header=BB1_5 Depth=1
	s_or_b64 exec, exec, s[24:25]
	s_and_saveexec_b64 s[24:25], s[2:3]
	s_cbranch_execnz .LBB1_11
.LBB1_8:                                ;   in Loop: Header=BB1_5 Depth=1
	s_or_b64 exec, exec, s[24:25]
	s_and_saveexec_b64 s[24:25], s[4:5]
	s_cbranch_execz .LBB1_4
	s_branch .LBB1_12
.LBB1_9:                                ;   in Loop: Header=BB1_5 Depth=1
	v_add_co_u32_e64 v19, s[6:7], v15, v1
	v_addc_co_u32_e64 v20, s[6:7], v16, v2, s[6:7]
	global_load_dword v21, v[19:20], off
	v_add_co_u32_e64 v19, s[6:7], v17, v1
	v_addc_co_u32_e64 v20, s[6:7], v18, v2, s[6:7]
	global_load_dword v22, v[19:20], off
	;; [unrolled: 3-line block ×4, first 2 shown]
	s_waitcnt vmcnt(3)
	v_cmp_gt_f32_e64 s[6:7], |v21|, s10
	v_cndmask_b32_e64 v20, 0, 1, s[6:7]
	s_waitcnt vmcnt(1)
	v_cmp_gt_f32_e64 s[6:7], |v23|, s10
	v_cndmask_b32_e64 v21, 0, 1, s[6:7]
	v_cmp_gt_f32_e64 s[6:7], |v22|, s10
	v_addc_co_u32_e64 v5, s[6:7], v5, v20, s[6:7]
	s_waitcnt vmcnt(0)
	v_cmp_gt_f32_e64 s[6:7], |v19|, s10
	v_addc_co_u32_e64 v5, s[6:7], v5, v21, s[6:7]
	s_or_b64 exec, exec, s[24:25]
	s_and_saveexec_b64 s[24:25], s[0:1]
	s_cbranch_execz .LBB1_7
.LBB1_10:                               ;   in Loop: Header=BB1_5 Depth=1
	v_add_co_u32_e64 v19, s[6:7], v15, v1
	v_addc_co_u32_e64 v20, s[6:7], v16, v2, s[6:7]
	global_load_dword v21, v[19:20], off offset:256
	v_add_co_u32_e64 v19, s[6:7], v17, v1
	v_addc_co_u32_e64 v20, s[6:7], v18, v2, s[6:7]
	global_load_dword v22, v[19:20], off offset:256
	v_add_co_u32_e64 v19, s[6:7], v11, v1
	v_addc_co_u32_e64 v20, s[6:7], v12, v2, s[6:7]
	global_load_dword v23, v[19:20], off offset:256
	v_add_co_u32_e64 v19, s[6:7], v13, v1
	v_addc_co_u32_e64 v20, s[6:7], v14, v2, s[6:7]
	global_load_dword v19, v[19:20], off offset:256
	s_waitcnt vmcnt(3)
	v_cmp_gt_f32_e64 s[6:7], |v21|, s10
	v_cndmask_b32_e64 v20, 0, 1, s[6:7]
	s_waitcnt vmcnt(1)
	v_cmp_gt_f32_e64 s[6:7], |v23|, s10
	v_cndmask_b32_e64 v21, 0, 1, s[6:7]
	v_cmp_gt_f32_e64 s[6:7], |v22|, s10
	v_addc_co_u32_e64 v7, s[6:7], v7, v20, s[6:7]
	s_waitcnt vmcnt(0)
	v_cmp_gt_f32_e64 s[6:7], |v19|, s10
	v_addc_co_u32_e64 v7, s[6:7], v7, v21, s[6:7]
	s_or_b64 exec, exec, s[24:25]
	s_and_saveexec_b64 s[24:25], s[2:3]
	s_cbranch_execz .LBB1_8
.LBB1_11:                               ;   in Loop: Header=BB1_5 Depth=1
	v_add_co_u32_e64 v19, s[6:7], v15, v1
	v_addc_co_u32_e64 v20, s[6:7], v16, v2, s[6:7]
	global_load_dword v21, v[19:20], off offset:512
	v_add_co_u32_e64 v19, s[6:7], v17, v1
	v_addc_co_u32_e64 v20, s[6:7], v18, v2, s[6:7]
	global_load_dword v22, v[19:20], off offset:512
	;; [unrolled: 3-line block ×4, first 2 shown]
	s_waitcnt vmcnt(3)
	v_cmp_gt_f32_e64 s[6:7], |v21|, s10
	v_cndmask_b32_e64 v20, 0, 1, s[6:7]
	s_waitcnt vmcnt(1)
	v_cmp_gt_f32_e64 s[6:7], |v23|, s10
	v_cndmask_b32_e64 v21, 0, 1, s[6:7]
	v_cmp_gt_f32_e64 s[6:7], |v22|, s10
	v_addc_co_u32_e64 v8, s[6:7], v8, v20, s[6:7]
	s_waitcnt vmcnt(0)
	v_cmp_gt_f32_e64 s[6:7], |v19|, s10
	v_addc_co_u32_e64 v8, s[6:7], v8, v21, s[6:7]
	s_or_b64 exec, exec, s[24:25]
	s_and_saveexec_b64 s[24:25], s[4:5]
	s_cbranch_execz .LBB1_4
.LBB1_12:                               ;   in Loop: Header=BB1_5 Depth=1
	v_add_co_u32_e64 v19, s[6:7], v15, v1
	v_addc_co_u32_e64 v20, s[6:7], v16, v2, s[6:7]
	global_load_dword v21, v[19:20], off offset:768
	v_add_co_u32_e64 v19, s[6:7], v17, v1
	v_addc_co_u32_e64 v20, s[6:7], v18, v2, s[6:7]
	global_load_dword v22, v[19:20], off offset:768
	;; [unrolled: 3-line block ×4, first 2 shown]
	s_waitcnt vmcnt(3)
	v_cmp_gt_f32_e64 s[6:7], |v21|, s10
	v_cndmask_b32_e64 v20, 0, 1, s[6:7]
	s_waitcnt vmcnt(1)
	v_cmp_gt_f32_e64 s[6:7], |v23|, s10
	v_cndmask_b32_e64 v21, 0, 1, s[6:7]
	v_cmp_gt_f32_e64 s[6:7], |v22|, s10
	v_addc_co_u32_e64 v9, s[6:7], v9, v20, s[6:7]
	s_waitcnt vmcnt(0)
	v_cmp_gt_f32_e64 s[6:7], |v19|, s10
	v_addc_co_u32_e64 v9, s[6:7], v9, v21, s[6:7]
	s_branch .LBB1_4
.LBB1_13:
	s_or_b64 exec, exec, s[22:23]
.LBB1_14:
	s_or_b64 exec, exec, s[18:19]
	s_sub_i32 s0, s15, s26
	s_cmp_lt_i32 s0, 1
	s_cbranch_scc1 .LBB1_56
; %bb.15:
	v_cmp_gt_i32_e32 vcc, s14, v0
	v_ashrrev_i32_e32 v1, 31, v0
	s_and_saveexec_b64 s[0:1], vcc
	s_cbranch_execz .LBB1_25
; %bb.16:
	v_lshlrev_b64 v[11:12], 2, v[0:1]
	v_mov_b32_e32 v13, s17
	v_add_co_u32_e32 v2, vcc, s16, v11
	v_addc_co_u32_e32 v11, vcc, v13, v12, vcc
	v_cmp_gt_i32_e32 vcc, s15, v6
	s_and_saveexec_b64 s[2:3], vcc
	s_cbranch_execz .LBB1_18
; %bb.17:
	v_mad_u64_u32 v[12:13], s[4:5], s8, v6, 0
	v_mad_u64_u32 v[13:14], s[4:5], s9, v6, v[13:14]
	v_lshlrev_b64 v[12:13], 2, v[12:13]
	v_add_co_u32_e32 v12, vcc, v2, v12
	v_addc_co_u32_e32 v13, vcc, v11, v13, vcc
	global_load_dword v12, v[12:13], off
	s_waitcnt vmcnt(0)
	v_cmp_gt_f32_e64 vcc, |v12|, s10
	v_addc_co_u32_e32 v5, vcc, 0, v5, vcc
.LBB1_18:
	s_or_b64 exec, exec, s[2:3]
	v_or_b32_e32 v12, 1, v6
	v_cmp_gt_i32_e32 vcc, s15, v12
	s_and_saveexec_b64 s[2:3], vcc
	s_cbranch_execz .LBB1_20
; %bb.19:
	v_mad_u64_u32 v[13:14], s[4:5], s8, v12, 0
	v_mad_u64_u32 v[14:15], s[4:5], s9, v12, v[14:15]
	v_lshlrev_b64 v[12:13], 2, v[13:14]
	v_add_co_u32_e32 v12, vcc, v2, v12
	v_addc_co_u32_e32 v13, vcc, v11, v13, vcc
	global_load_dword v12, v[12:13], off
	s_waitcnt vmcnt(0)
	v_cmp_gt_f32_e64 vcc, |v12|, s10
	v_addc_co_u32_e32 v5, vcc, 0, v5, vcc
.LBB1_20:
	s_or_b64 exec, exec, s[2:3]
	v_or_b32_e32 v12, 2, v6
	;; [unrolled: 16-line block ×3, first 2 shown]
	v_cmp_gt_i32_e32 vcc, s15, v12
	s_and_saveexec_b64 s[2:3], vcc
	s_cbranch_execz .LBB1_24
; %bb.23:
	v_mad_u64_u32 v[13:14], s[4:5], s8, v12, 0
	v_mad_u64_u32 v[14:15], s[4:5], s9, v12, v[14:15]
	v_lshlrev_b64 v[12:13], 2, v[13:14]
	v_add_co_u32_e32 v12, vcc, v2, v12
	v_addc_co_u32_e32 v13, vcc, v11, v13, vcc
	global_load_dword v2, v[12:13], off
	s_waitcnt vmcnt(0)
	v_cmp_gt_f32_e64 vcc, |v2|, s10
	v_addc_co_u32_e32 v5, vcc, 0, v5, vcc
.LBB1_24:
	s_or_b64 exec, exec, s[2:3]
.LBB1_25:
	s_or_b64 exec, exec, s[0:1]
	v_cmp_gt_i32_e32 vcc, s14, v10
	s_and_saveexec_b64 s[0:1], vcc
	s_cbranch_execz .LBB1_35
; %bb.26:
	v_lshlrev_b64 v[10:11], 2, v[0:1]
	v_mov_b32_e32 v12, s17
	v_add_co_u32_e32 v2, vcc, s16, v10
	v_addc_co_u32_e32 v10, vcc, v12, v11, vcc
	v_cmp_gt_i32_e32 vcc, s15, v6
	s_and_saveexec_b64 s[2:3], vcc
	s_cbranch_execz .LBB1_28
; %bb.27:
	v_mad_u64_u32 v[11:12], s[4:5], s8, v6, 0
	v_mad_u64_u32 v[12:13], s[4:5], s9, v6, v[12:13]
	v_lshlrev_b64 v[11:12], 2, v[11:12]
	v_add_co_u32_e32 v11, vcc, v2, v11
	v_addc_co_u32_e32 v12, vcc, v10, v12, vcc
	global_load_dword v11, v[11:12], off offset:256
	s_waitcnt vmcnt(0)
	v_cmp_gt_f32_e64 vcc, |v11|, s10
	v_addc_co_u32_e32 v7, vcc, 0, v7, vcc
.LBB1_28:
	s_or_b64 exec, exec, s[2:3]
	v_or_b32_e32 v11, 1, v6
	v_cmp_gt_i32_e32 vcc, s15, v11
	s_and_saveexec_b64 s[2:3], vcc
	s_cbranch_execz .LBB1_30
; %bb.29:
	v_mad_u64_u32 v[12:13], s[4:5], s8, v11, 0
	v_mad_u64_u32 v[13:14], s[4:5], s9, v11, v[13:14]
	v_lshlrev_b64 v[11:12], 2, v[12:13]
	v_add_co_u32_e32 v11, vcc, v2, v11
	v_addc_co_u32_e32 v12, vcc, v10, v12, vcc
	global_load_dword v11, v[11:12], off offset:256
	s_waitcnt vmcnt(0)
	v_cmp_gt_f32_e64 vcc, |v11|, s10
	v_addc_co_u32_e32 v7, vcc, 0, v7, vcc
.LBB1_30:
	s_or_b64 exec, exec, s[2:3]
	v_or_b32_e32 v11, 2, v6
	;; [unrolled: 16-line block ×3, first 2 shown]
	v_cmp_gt_i32_e32 vcc, s15, v11
	s_and_saveexec_b64 s[2:3], vcc
	s_cbranch_execz .LBB1_34
; %bb.33:
	v_mad_u64_u32 v[12:13], s[4:5], s8, v11, 0
	v_mad_u64_u32 v[13:14], s[4:5], s9, v11, v[13:14]
	v_lshlrev_b64 v[11:12], 2, v[12:13]
	v_add_co_u32_e32 v11, vcc, v2, v11
	v_addc_co_u32_e32 v12, vcc, v10, v12, vcc
	global_load_dword v2, v[11:12], off offset:256
	s_waitcnt vmcnt(0)
	v_cmp_gt_f32_e64 vcc, |v2|, s10
	v_addc_co_u32_e32 v7, vcc, 0, v7, vcc
.LBB1_34:
	s_or_b64 exec, exec, s[2:3]
.LBB1_35:
	s_or_b64 exec, exec, s[0:1]
	v_or_b32_e32 v2, 0x80, v0
	v_cmp_gt_i32_e32 vcc, s14, v2
	s_and_saveexec_b64 s[0:1], vcc
	s_cbranch_execz .LBB1_45
; %bb.36:
	v_lshlrev_b64 v[10:11], 2, v[0:1]
	v_mov_b32_e32 v12, s17
	v_add_co_u32_e32 v2, vcc, s16, v10
	v_addc_co_u32_e32 v10, vcc, v12, v11, vcc
	v_cmp_gt_i32_e32 vcc, s15, v6
	s_and_saveexec_b64 s[2:3], vcc
	s_cbranch_execz .LBB1_38
; %bb.37:
	v_mad_u64_u32 v[11:12], s[4:5], s8, v6, 0
	v_mad_u64_u32 v[12:13], s[4:5], s9, v6, v[12:13]
	v_lshlrev_b64 v[11:12], 2, v[11:12]
	v_add_co_u32_e32 v11, vcc, v2, v11
	v_addc_co_u32_e32 v12, vcc, v10, v12, vcc
	global_load_dword v11, v[11:12], off offset:512
	s_waitcnt vmcnt(0)
	v_cmp_gt_f32_e64 vcc, |v11|, s10
	v_addc_co_u32_e32 v8, vcc, 0, v8, vcc
.LBB1_38:
	s_or_b64 exec, exec, s[2:3]
	v_or_b32_e32 v11, 1, v6
	v_cmp_gt_i32_e32 vcc, s15, v11
	s_and_saveexec_b64 s[2:3], vcc
	s_cbranch_execz .LBB1_40
; %bb.39:
	v_mad_u64_u32 v[12:13], s[4:5], s8, v11, 0
	v_mad_u64_u32 v[13:14], s[4:5], s9, v11, v[13:14]
	v_lshlrev_b64 v[11:12], 2, v[12:13]
	v_add_co_u32_e32 v11, vcc, v2, v11
	v_addc_co_u32_e32 v12, vcc, v10, v12, vcc
	global_load_dword v11, v[11:12], off offset:512
	s_waitcnt vmcnt(0)
	v_cmp_gt_f32_e64 vcc, |v11|, s10
	v_addc_co_u32_e32 v8, vcc, 0, v8, vcc
.LBB1_40:
	s_or_b64 exec, exec, s[2:3]
	v_or_b32_e32 v11, 2, v6
	;; [unrolled: 16-line block ×3, first 2 shown]
	v_cmp_gt_i32_e32 vcc, s15, v11
	s_and_saveexec_b64 s[2:3], vcc
	s_cbranch_execz .LBB1_44
; %bb.43:
	v_mad_u64_u32 v[12:13], s[4:5], s8, v11, 0
	v_mad_u64_u32 v[13:14], s[4:5], s9, v11, v[13:14]
	v_lshlrev_b64 v[11:12], 2, v[12:13]
	v_add_co_u32_e32 v11, vcc, v2, v11
	v_addc_co_u32_e32 v12, vcc, v10, v12, vcc
	global_load_dword v2, v[11:12], off offset:512
	s_waitcnt vmcnt(0)
	v_cmp_gt_f32_e64 vcc, |v2|, s10
	v_addc_co_u32_e32 v8, vcc, 0, v8, vcc
.LBB1_44:
	s_or_b64 exec, exec, s[2:3]
.LBB1_45:
	s_or_b64 exec, exec, s[0:1]
	v_or_b32_e32 v2, 0xc0, v0
	v_cmp_gt_i32_e32 vcc, s14, v2
	s_and_saveexec_b64 s[0:1], vcc
	s_cbranch_execz .LBB1_55
; %bb.46:
	v_lshlrev_b64 v[0:1], 2, v[0:1]
	v_mov_b32_e32 v2, s17
	v_add_co_u32_e32 v0, vcc, s16, v0
	v_addc_co_u32_e32 v1, vcc, v2, v1, vcc
	v_cmp_gt_i32_e32 vcc, s15, v6
	s_and_saveexec_b64 s[2:3], vcc
	s_cbranch_execz .LBB1_48
; %bb.47:
	v_mad_u64_u32 v[10:11], s[4:5], s8, v6, 0
	v_mov_b32_e32 v2, v11
	v_mad_u64_u32 v[11:12], s[4:5], s9, v6, v[2:3]
	v_lshlrev_b64 v[10:11], 2, v[10:11]
	v_add_co_u32_e32 v10, vcc, v0, v10
	v_addc_co_u32_e32 v11, vcc, v1, v11, vcc
	global_load_dword v2, v[10:11], off offset:768
	s_waitcnt vmcnt(0)
	v_cmp_gt_f32_e64 vcc, |v2|, s10
	v_addc_co_u32_e32 v9, vcc, 0, v9, vcc
.LBB1_48:
	s_or_b64 exec, exec, s[2:3]
	v_or_b32_e32 v2, 1, v6
	v_cmp_gt_i32_e32 vcc, s15, v2
	s_and_saveexec_b64 s[2:3], vcc
	s_cbranch_execz .LBB1_50
; %bb.49:
	v_mad_u64_u32 v[10:11], s[4:5], s8, v2, 0
	v_mad_u64_u32 v[11:12], s[4:5], s9, v2, v[11:12]
	v_lshlrev_b64 v[10:11], 2, v[10:11]
	v_add_co_u32_e32 v10, vcc, v0, v10
	v_addc_co_u32_e32 v11, vcc, v1, v11, vcc
	global_load_dword v2, v[10:11], off offset:768
	s_waitcnt vmcnt(0)
	v_cmp_gt_f32_e64 vcc, |v2|, s10
	v_addc_co_u32_e32 v9, vcc, 0, v9, vcc
.LBB1_50:
	s_or_b64 exec, exec, s[2:3]
	v_or_b32_e32 v2, 2, v6
	v_cmp_gt_i32_e32 vcc, s15, v2
	s_and_saveexec_b64 s[2:3], vcc
	s_cbranch_execz .LBB1_52
; %bb.51:
	v_mad_u64_u32 v[10:11], s[4:5], s8, v2, 0
	v_mad_u64_u32 v[11:12], s[4:5], s9, v2, v[11:12]
	v_lshlrev_b64 v[10:11], 2, v[10:11]
	v_add_co_u32_e32 v10, vcc, v0, v10
	v_addc_co_u32_e32 v11, vcc, v1, v11, vcc
	global_load_dword v2, v[10:11], off offset:768
	s_waitcnt vmcnt(0)
	v_cmp_gt_f32_e64 vcc, |v2|, s10
	v_addc_co_u32_e32 v9, vcc, 0, v9, vcc
.LBB1_52:
	s_or_b64 exec, exec, s[2:3]
	v_or_b32_e32 v2, 3, v6
	v_cmp_gt_i32_e32 vcc, s15, v2
	s_and_saveexec_b64 s[2:3], vcc
	s_cbranch_execz .LBB1_54
; %bb.53:
	v_mad_u64_u32 v[10:11], s[4:5], s8, v2, 0
	v_mov_b32_e32 v6, v11
	v_mad_u64_u32 v[11:12], s[4:5], s9, v2, v[6:7]
	v_lshlrev_b64 v[10:11], 2, v[10:11]
	v_add_co_u32_e32 v0, vcc, v0, v10
	v_addc_co_u32_e32 v1, vcc, v1, v11, vcc
	global_load_dword v0, v[0:1], off offset:768
	s_waitcnt vmcnt(0)
	v_cmp_gt_f32_e64 vcc, |v0|, s10
	v_addc_co_u32_e32 v9, vcc, 0, v9, vcc
.LBB1_54:
	s_or_b64 exec, exec, s[2:3]
.LBB1_55:
	s_or_b64 exec, exec, s[0:1]
.LBB1_56:
	v_lshlrev_b32_e32 v0, 4, v3
	v_lshlrev_b32_e32 v1, 2, v4
	s_mov_b32 s0, 0x7ffffc00
	v_and_or_b32 v0, v0, s0, v1
	s_movk_i32 s0, 0x100
	v_cmp_gt_u32_e32 vcc, s0, v3
	ds_write2st64_b32 v0, v5, v7 offset1:1
	ds_write2st64_b32 v0, v8, v9 offset0:2 offset1:3
	s_waitcnt lgkmcnt(0)
	s_barrier
	s_and_saveexec_b64 s[0:1], vcc
	s_cbranch_execz .LBB1_59
; %bb.57:
	v_lshlrev_b32_e32 v12, 2, v3
	ds_read2st64_b32 v[1:2], v12 offset1:4
	ds_read2st64_b32 v[4:5], v12 offset0:8 offset1:12
	ds_read2st64_b32 v[6:7], v12 offset0:16 offset1:20
	;; [unrolled: 1-line block ×3, first 2 shown]
	v_or_b32_e32 v0, s11, v3
	s_waitcnt lgkmcnt(3)
	v_add_u32_e32 v1, v2, v1
	s_waitcnt lgkmcnt(2)
	v_add3_u32 v1, v1, v4, v5
	s_waitcnt lgkmcnt(1)
	v_add3_u32 v7, v1, v6, v7
	ds_read2st64_b32 v[1:2], v12 offset0:32 offset1:36
	ds_read2st64_b32 v[3:4], v12 offset0:40 offset1:44
	;; [unrolled: 1-line block ×4, first 2 shown]
	s_waitcnt lgkmcnt(4)
	v_add3_u32 v7, v7, v8, v9
	s_waitcnt lgkmcnt(3)
	v_add3_u32 v1, v7, v1, v2
	s_waitcnt lgkmcnt(2)
	v_add3_u32 v1, v1, v3, v4
	s_waitcnt lgkmcnt(1)
	v_add3_u32 v1, v1, v5, v6
	s_waitcnt lgkmcnt(0)
	v_add3_u32 v2, v1, v10, v11
	v_cmp_gt_i32_e32 vcc, s14, v0
	ds_write_b32 v12, v2
	s_and_b64 exec, exec, vcc
	s_cbranch_execz .LBB1_59
; %bb.58:
	v_ashrrev_i32_e32 v1, 31, v0
	v_lshlrev_b64 v[0:1], 2, v[0:1]
	v_mov_b32_e32 v3, s13
	v_add_co_u32_e32 v0, vcc, s12, v0
	v_addc_co_u32_e32 v1, vcc, v3, v1, vcc
	global_store_dword v[0:1], v2, off
.LBB1_59:
	s_endpgm
	.section	.rodata,"a",@progbits
	.p2align	6, 0x0
	.amdhsa_kernel _ZN9rocsparseL26prune_dense2csr_nnz_kernelILi64ELi16EfEEviiPKT1_lNS_24const_host_device_scalarIS1_EEPib
		.amdhsa_group_segment_fixed_size 16384
		.amdhsa_private_segment_fixed_size 0
		.amdhsa_kernarg_size 304
		.amdhsa_user_sgpr_count 6
		.amdhsa_user_sgpr_private_segment_buffer 1
		.amdhsa_user_sgpr_dispatch_ptr 0
		.amdhsa_user_sgpr_queue_ptr 0
		.amdhsa_user_sgpr_kernarg_segment_ptr 1
		.amdhsa_user_sgpr_dispatch_id 0
		.amdhsa_user_sgpr_flat_scratch_init 0
		.amdhsa_user_sgpr_private_segment_size 0
		.amdhsa_uses_dynamic_stack 0
		.amdhsa_system_sgpr_private_segment_wavefront_offset 0
		.amdhsa_system_sgpr_workgroup_id_x 1
		.amdhsa_system_sgpr_workgroup_id_y 0
		.amdhsa_system_sgpr_workgroup_id_z 0
		.amdhsa_system_sgpr_workgroup_info 0
		.amdhsa_system_vgpr_workitem_id 1
		.amdhsa_next_free_vgpr 29
		.amdhsa_next_free_sgpr 61
		.amdhsa_reserve_vcc 1
		.amdhsa_reserve_flat_scratch 0
		.amdhsa_float_round_mode_32 0
		.amdhsa_float_round_mode_16_64 0
		.amdhsa_float_denorm_mode_32 3
		.amdhsa_float_denorm_mode_16_64 3
		.amdhsa_dx10_clamp 1
		.amdhsa_ieee_mode 1
		.amdhsa_fp16_overflow 0
		.amdhsa_exception_fp_ieee_invalid_op 0
		.amdhsa_exception_fp_denorm_src 0
		.amdhsa_exception_fp_ieee_div_zero 0
		.amdhsa_exception_fp_ieee_overflow 0
		.amdhsa_exception_fp_ieee_underflow 0
		.amdhsa_exception_fp_ieee_inexact 0
		.amdhsa_exception_int_div_zero 0
	.end_amdhsa_kernel
	.section	.text._ZN9rocsparseL26prune_dense2csr_nnz_kernelILi64ELi16EfEEviiPKT1_lNS_24const_host_device_scalarIS1_EEPib,"axG",@progbits,_ZN9rocsparseL26prune_dense2csr_nnz_kernelILi64ELi16EfEEviiPKT1_lNS_24const_host_device_scalarIS1_EEPib,comdat
.Lfunc_end1:
	.size	_ZN9rocsparseL26prune_dense2csr_nnz_kernelILi64ELi16EfEEviiPKT1_lNS_24const_host_device_scalarIS1_EEPib, .Lfunc_end1-_ZN9rocsparseL26prune_dense2csr_nnz_kernelILi64ELi16EfEEviiPKT1_lNS_24const_host_device_scalarIS1_EEPib
                                        ; -- End function
	.set _ZN9rocsparseL26prune_dense2csr_nnz_kernelILi64ELi16EfEEviiPKT1_lNS_24const_host_device_scalarIS1_EEPib.num_vgpr, 24
	.set _ZN9rocsparseL26prune_dense2csr_nnz_kernelILi64ELi16EfEEviiPKT1_lNS_24const_host_device_scalarIS1_EEPib.num_agpr, 0
	.set _ZN9rocsparseL26prune_dense2csr_nnz_kernelILi64ELi16EfEEviiPKT1_lNS_24const_host_device_scalarIS1_EEPib.numbered_sgpr, 27
	.set _ZN9rocsparseL26prune_dense2csr_nnz_kernelILi64ELi16EfEEviiPKT1_lNS_24const_host_device_scalarIS1_EEPib.num_named_barrier, 0
	.set _ZN9rocsparseL26prune_dense2csr_nnz_kernelILi64ELi16EfEEviiPKT1_lNS_24const_host_device_scalarIS1_EEPib.private_seg_size, 0
	.set _ZN9rocsparseL26prune_dense2csr_nnz_kernelILi64ELi16EfEEviiPKT1_lNS_24const_host_device_scalarIS1_EEPib.uses_vcc, 1
	.set _ZN9rocsparseL26prune_dense2csr_nnz_kernelILi64ELi16EfEEviiPKT1_lNS_24const_host_device_scalarIS1_EEPib.uses_flat_scratch, 0
	.set _ZN9rocsparseL26prune_dense2csr_nnz_kernelILi64ELi16EfEEviiPKT1_lNS_24const_host_device_scalarIS1_EEPib.has_dyn_sized_stack, 0
	.set _ZN9rocsparseL26prune_dense2csr_nnz_kernelILi64ELi16EfEEviiPKT1_lNS_24const_host_device_scalarIS1_EEPib.has_recursion, 0
	.set _ZN9rocsparseL26prune_dense2csr_nnz_kernelILi64ELi16EfEEviiPKT1_lNS_24const_host_device_scalarIS1_EEPib.has_indirect_call, 0
	.section	.AMDGPU.csdata,"",@progbits
; Kernel info:
; codeLenInByte = 3024
; TotalNumSgprs: 31
; NumVgprs: 24
; ScratchSize: 0
; MemoryBound: 0
; FloatMode: 240
; IeeeMode: 1
; LDSByteSize: 16384 bytes/workgroup (compile time only)
; SGPRBlocks: 8
; VGPRBlocks: 7
; NumSGPRsForWavesPerEU: 65
; NumVGPRsForWavesPerEU: 29
; Occupancy: 8
; WaveLimiterHint : 0
; COMPUTE_PGM_RSRC2:SCRATCH_EN: 0
; COMPUTE_PGM_RSRC2:USER_SGPR: 6
; COMPUTE_PGM_RSRC2:TRAP_HANDLER: 0
; COMPUTE_PGM_RSRC2:TGID_X_EN: 1
; COMPUTE_PGM_RSRC2:TGID_Y_EN: 0
; COMPUTE_PGM_RSRC2:TGID_Z_EN: 0
; COMPUTE_PGM_RSRC2:TIDIG_COMP_CNT: 1
	.section	.text._ZN9rocsparseL26prune_dense2csr_nnz_kernelILi64ELi16EdEEviiPKT1_lNS_24const_host_device_scalarIS1_EEPib,"axG",@progbits,_ZN9rocsparseL26prune_dense2csr_nnz_kernelILi64ELi16EdEEviiPKT1_lNS_24const_host_device_scalarIS1_EEPib,comdat
	.globl	_ZN9rocsparseL26prune_dense2csr_nnz_kernelILi64ELi16EdEEviiPKT1_lNS_24const_host_device_scalarIS1_EEPib ; -- Begin function _ZN9rocsparseL26prune_dense2csr_nnz_kernelILi64ELi16EdEEviiPKT1_lNS_24const_host_device_scalarIS1_EEPib
	.p2align	8
	.type	_ZN9rocsparseL26prune_dense2csr_nnz_kernelILi64ELi16EdEEviiPKT1_lNS_24const_host_device_scalarIS1_EEPib,@function
_ZN9rocsparseL26prune_dense2csr_nnz_kernelILi64ELi16EdEEviiPKT1_lNS_24const_host_device_scalarIS1_EEPib: ; @_ZN9rocsparseL26prune_dense2csr_nnz_kernelILi64ELi16EdEEviiPKT1_lNS_24const_host_device_scalarIS1_EEPib
; %bb.0:
	s_load_dword s0, s[4:5], 0x28
	s_load_dwordx4 s[8:11], s[4:5], 0x10
	s_load_dwordx2 s[14:15], s[4:5], 0x8
	s_waitcnt lgkmcnt(0)
	s_bitcmp1_b32 s0, 0
	s_cselect_b64 s[0:1], -1, 0
	v_mov_b32_e32 v2, s10
	s_and_b64 vcc, exec, s[0:1]
	v_mov_b32_e32 v3, s11
	s_cbranch_vccnz .LBB2_2
; %bb.1:
	v_mov_b32_e32 v2, s10
	v_mov_b32_e32 v3, s11
	flat_load_dwordx2 v[2:3], v[2:3]
.LBB2_2:
	s_load_dword s0, s[4:5], 0x3c
	s_load_dwordx2 s[12:13], s[4:5], 0x0
	s_load_dwordx2 s[10:11], s[4:5], 0x20
	s_lshl_b32 s24, s6, 8
	v_mov_b32_e32 v8, 0
	s_waitcnt lgkmcnt(0)
	s_and_b32 s0, s0, 0xffff
	s_ashr_i32 s1, s13, 31
	v_mad_u32_u24 v6, v1, s0, v0
	s_lshr_b32 s0, s1, 26
	v_and_b32_e32 v7, 63, v6
	s_add_i32 s25, s13, s0
	v_lshrrev_b32_e32 v1, 4, v6
	v_or_b32_e32 v0, s24, v7
	s_andn2_b32 s25, s25, 63
	v_and_b32_e32 v9, 0x7ffffc, v1
	v_cmp_gt_i32_e32 vcc, s25, v9
	v_mov_b32_e32 v10, v8
	v_mov_b32_e32 v11, v8
	;; [unrolled: 1-line block ×3, first 2 shown]
	v_or_b32_e32 v13, 64, v0
	s_and_saveexec_b64 s[16:17], vcc
	s_cbranch_execz .LBB2_14
; %bb.3:
	v_lshrrev_b32_e32 v19, 6, v6
	v_lshlrev_b32_e32 v20, 2, v19
	v_or_b32_e32 v12, 2, v20
	v_mad_u64_u32 v[10:11], s[6:7], s8, v12, 0
	v_or_b32_e32 v1, 0x80, v0
	v_cmp_gt_i32_e64 s[2:3], s12, v1
	v_or_b32_e32 v1, 0xc0, v0
	v_cmp_gt_i32_e64 s[4:5], s12, v1
	v_mov_b32_e32 v1, v11
	s_waitcnt vmcnt(0)
	v_mad_u64_u32 v[11:12], s[6:7], s9, v12, v[1:2]
	v_or_b32_e32 v12, 3, v20
	v_mad_u64_u32 v[15:16], s[6:7], s8, v12, 0
	v_lshlrev_b64 v[10:11], 3, v[10:11]
	v_mov_b32_e32 v14, s15
	v_mov_b32_e32 v1, v16
	v_mad_u64_u32 v[16:17], s[6:7], s9, v12, v[1:2]
	v_add_co_u32_e64 v1, s[6:7], s14, v10
	v_addc_co_u32_e64 v14, s[6:7], v14, v11, s[6:7]
	v_mad_u64_u32 v[17:18], s[6:7], s8, v19, 0
	v_lshlrev_b64 v[10:11], 3, v[15:16]
	v_mov_b32_e32 v12, s15
	v_add_co_u32_e64 v15, s[6:7], s14, v10
	v_mov_b32_e32 v10, v18
	v_addc_co_u32_e64 v16, s[6:7], v12, v11, s[6:7]
	v_mad_u64_u32 v[10:11], s[6:7], s9, v19, v[10:11]
	v_mov_b32_e32 v12, s9
	v_mov_b32_e32 v11, s8
	v_mad_u64_u32 v[11:12], s[6:7], s8, v20, v[11:12]
	v_mov_b32_e32 v18, v10
	v_lshlrev_b64 v[17:18], 5, v[17:18]
	v_mov_b32_e32 v10, v12
	v_mad_u64_u32 v[19:20], s[6:7], s9, v20, v[10:11]
	v_add_u32_e32 v4, s24, v7
	v_mov_b32_e32 v21, s15
	v_mov_b32_e32 v12, v19
	v_add_co_u32_e64 v17, s[6:7], s14, v17
	v_lshlrev_b64 v[10:11], 3, v[11:12]
	v_ashrrev_i32_e32 v5, 31, v4
	v_addc_co_u32_e64 v18, s[6:7], v21, v18, s[6:7]
	v_lshlrev_b64 v[4:5], 3, v[4:5]
	v_mov_b32_e32 v12, s15
	v_add_co_u32_e64 v19, s[6:7], s14, v10
	v_cmp_gt_i32_e32 vcc, s12, v0
	v_cmp_gt_i32_e64 s[0:1], s12, v13
	s_lshl_b64 s[18:19], s[8:9], 9
	v_addc_co_u32_e64 v20, s[6:7], v12, v11, s[6:7]
	v_mov_b32_e32 v10, v8
	v_mov_b32_e32 v11, v8
	v_mov_b32_e32 v12, v8
	s_mov_b64 s[20:21], 0
	s_branch .LBB2_5
.LBB2_4:                                ;   in Loop: Header=BB2_5 Depth=1
	s_or_b64 exec, exec, s[22:23]
	v_mov_b32_e32 v21, s19
	v_add_co_u32_e64 v1, s[6:7], s18, v1
	v_addc_co_u32_e64 v14, s[6:7], v14, v21, s[6:7]
	v_add_co_u32_e64 v15, s[6:7], s18, v15
	v_addc_co_u32_e64 v16, s[6:7], v16, v21, s[6:7]
	v_add_co_u32_e64 v17, s[6:7], s18, v17
	v_add_u32_e32 v9, 64, v9
	v_addc_co_u32_e64 v18, s[6:7], v18, v21, s[6:7]
	v_cmp_le_i32_e64 s[6:7], s25, v9
	s_or_b64 s[20:21], s[6:7], s[20:21]
	v_add_co_u32_e64 v19, s[6:7], s18, v19
	v_addc_co_u32_e64 v20, s[6:7], v20, v21, s[6:7]
	s_andn2_b64 exec, exec, s[20:21]
	s_cbranch_execz .LBB2_13
.LBB2_5:                                ; =>This Inner Loop Header: Depth=1
	s_and_saveexec_b64 s[22:23], vcc
	s_cbranch_execnz .LBB2_9
; %bb.6:                                ;   in Loop: Header=BB2_5 Depth=1
	s_or_b64 exec, exec, s[22:23]
	s_and_saveexec_b64 s[22:23], s[0:1]
	s_cbranch_execnz .LBB2_10
.LBB2_7:                                ;   in Loop: Header=BB2_5 Depth=1
	s_or_b64 exec, exec, s[22:23]
	s_and_saveexec_b64 s[22:23], s[2:3]
	s_cbranch_execnz .LBB2_11
.LBB2_8:                                ;   in Loop: Header=BB2_5 Depth=1
	s_or_b64 exec, exec, s[22:23]
	s_and_saveexec_b64 s[22:23], s[4:5]
	s_cbranch_execz .LBB2_4
	s_branch .LBB2_12
.LBB2_9:                                ;   in Loop: Header=BB2_5 Depth=1
	v_add_co_u32_e64 v21, s[6:7], v17, v4
	v_addc_co_u32_e64 v22, s[6:7], v18, v5, s[6:7]
	global_load_dwordx2 v[21:22], v[21:22], off
	v_add_co_u32_e64 v23, s[6:7], v19, v4
	v_addc_co_u32_e64 v24, s[6:7], v20, v5, s[6:7]
	v_add_co_u32_e64 v25, s[6:7], v1, v4
	v_addc_co_u32_e64 v26, s[6:7], v14, v5, s[6:7]
	global_load_dwordx2 v[25:26], v[25:26], off
	v_add_co_u32_e64 v27, s[6:7], v15, v4
	global_load_dwordx2 v[23:24], v[23:24], off
	v_addc_co_u32_e64 v28, s[6:7], v16, v5, s[6:7]
	global_load_dwordx2 v[27:28], v[27:28], off
	s_waitcnt vmcnt(3)
	v_cmp_gt_f64_e64 s[6:7], |v[21:22]|, v[2:3]
	v_cndmask_b32_e64 v21, 0, 1, s[6:7]
	s_waitcnt vmcnt(2)
	v_cmp_gt_f64_e64 s[6:7], |v[25:26]|, v[2:3]
	v_cndmask_b32_e64 v22, 0, 1, s[6:7]
	s_waitcnt vmcnt(1)
	v_cmp_gt_f64_e64 s[6:7], |v[23:24]|, v[2:3]
	v_addc_co_u32_e64 v8, s[6:7], v8, v21, s[6:7]
	s_waitcnt vmcnt(0)
	v_cmp_gt_f64_e64 s[6:7], |v[27:28]|, v[2:3]
	v_addc_co_u32_e64 v8, s[6:7], v8, v22, s[6:7]
	s_or_b64 exec, exec, s[22:23]
	s_and_saveexec_b64 s[22:23], s[0:1]
	s_cbranch_execz .LBB2_7
.LBB2_10:                               ;   in Loop: Header=BB2_5 Depth=1
	v_add_co_u32_e64 v21, s[6:7], v17, v4
	v_addc_co_u32_e64 v22, s[6:7], v18, v5, s[6:7]
	global_load_dwordx2 v[21:22], v[21:22], off offset:512
	v_add_co_u32_e64 v23, s[6:7], v19, v4
	v_addc_co_u32_e64 v24, s[6:7], v20, v5, s[6:7]
	v_add_co_u32_e64 v25, s[6:7], v1, v4
	v_addc_co_u32_e64 v26, s[6:7], v14, v5, s[6:7]
	global_load_dwordx2 v[25:26], v[25:26], off offset:512
	v_add_co_u32_e64 v27, s[6:7], v15, v4
	global_load_dwordx2 v[23:24], v[23:24], off offset:512
	v_addc_co_u32_e64 v28, s[6:7], v16, v5, s[6:7]
	global_load_dwordx2 v[27:28], v[27:28], off offset:512
	s_waitcnt vmcnt(3)
	v_cmp_gt_f64_e64 s[6:7], |v[21:22]|, v[2:3]
	v_cndmask_b32_e64 v21, 0, 1, s[6:7]
	s_waitcnt vmcnt(2)
	v_cmp_gt_f64_e64 s[6:7], |v[25:26]|, v[2:3]
	v_cndmask_b32_e64 v22, 0, 1, s[6:7]
	s_waitcnt vmcnt(1)
	v_cmp_gt_f64_e64 s[6:7], |v[23:24]|, v[2:3]
	v_addc_co_u32_e64 v10, s[6:7], v10, v21, s[6:7]
	s_waitcnt vmcnt(0)
	v_cmp_gt_f64_e64 s[6:7], |v[27:28]|, v[2:3]
	v_addc_co_u32_e64 v10, s[6:7], v10, v22, s[6:7]
	s_or_b64 exec, exec, s[22:23]
	s_and_saveexec_b64 s[22:23], s[2:3]
	s_cbranch_execz .LBB2_8
.LBB2_11:                               ;   in Loop: Header=BB2_5 Depth=1
	v_add_co_u32_e64 v21, s[6:7], v17, v4
	v_addc_co_u32_e64 v22, s[6:7], v18, v5, s[6:7]
	global_load_dwordx2 v[21:22], v[21:22], off offset:1024
	v_add_co_u32_e64 v23, s[6:7], v19, v4
	v_addc_co_u32_e64 v24, s[6:7], v20, v5, s[6:7]
	v_add_co_u32_e64 v25, s[6:7], v1, v4
	v_addc_co_u32_e64 v26, s[6:7], v14, v5, s[6:7]
	global_load_dwordx2 v[25:26], v[25:26], off offset:1024
	v_add_co_u32_e64 v27, s[6:7], v15, v4
	global_load_dwordx2 v[23:24], v[23:24], off offset:1024
	v_addc_co_u32_e64 v28, s[6:7], v16, v5, s[6:7]
	global_load_dwordx2 v[27:28], v[27:28], off offset:1024
	s_waitcnt vmcnt(3)
	v_cmp_gt_f64_e64 s[6:7], |v[21:22]|, v[2:3]
	v_cndmask_b32_e64 v21, 0, 1, s[6:7]
	s_waitcnt vmcnt(2)
	v_cmp_gt_f64_e64 s[6:7], |v[25:26]|, v[2:3]
	v_cndmask_b32_e64 v22, 0, 1, s[6:7]
	s_waitcnt vmcnt(1)
	v_cmp_gt_f64_e64 s[6:7], |v[23:24]|, v[2:3]
	v_addc_co_u32_e64 v11, s[6:7], v11, v21, s[6:7]
	s_waitcnt vmcnt(0)
	v_cmp_gt_f64_e64 s[6:7], |v[27:28]|, v[2:3]
	v_addc_co_u32_e64 v11, s[6:7], v11, v22, s[6:7]
	s_or_b64 exec, exec, s[22:23]
	s_and_saveexec_b64 s[22:23], s[4:5]
	s_cbranch_execz .LBB2_4
.LBB2_12:                               ;   in Loop: Header=BB2_5 Depth=1
	v_add_co_u32_e64 v21, s[6:7], v17, v4
	v_addc_co_u32_e64 v22, s[6:7], v18, v5, s[6:7]
	global_load_dwordx2 v[21:22], v[21:22], off offset:1536
	v_add_co_u32_e64 v23, s[6:7], v19, v4
	v_addc_co_u32_e64 v24, s[6:7], v20, v5, s[6:7]
	v_add_co_u32_e64 v25, s[6:7], v1, v4
	v_addc_co_u32_e64 v26, s[6:7], v14, v5, s[6:7]
	global_load_dwordx2 v[25:26], v[25:26], off offset:1536
	v_add_co_u32_e64 v27, s[6:7], v15, v4
	global_load_dwordx2 v[23:24], v[23:24], off offset:1536
	v_addc_co_u32_e64 v28, s[6:7], v16, v5, s[6:7]
	global_load_dwordx2 v[27:28], v[27:28], off offset:1536
	s_waitcnt vmcnt(3)
	v_cmp_gt_f64_e64 s[6:7], |v[21:22]|, v[2:3]
	v_cndmask_b32_e64 v21, 0, 1, s[6:7]
	s_waitcnt vmcnt(2)
	v_cmp_gt_f64_e64 s[6:7], |v[25:26]|, v[2:3]
	v_cndmask_b32_e64 v22, 0, 1, s[6:7]
	s_waitcnt vmcnt(1)
	v_cmp_gt_f64_e64 s[6:7], |v[23:24]|, v[2:3]
	v_addc_co_u32_e64 v12, s[6:7], v12, v21, s[6:7]
	s_waitcnt vmcnt(0)
	v_cmp_gt_f64_e64 s[6:7], |v[27:28]|, v[2:3]
	v_addc_co_u32_e64 v12, s[6:7], v12, v22, s[6:7]
	s_branch .LBB2_4
.LBB2_13:
	s_or_b64 exec, exec, s[20:21]
.LBB2_14:
	s_or_b64 exec, exec, s[16:17]
	s_sub_i32 s0, s13, s25
	s_cmp_lt_i32 s0, 1
	s_cbranch_scc1 .LBB2_56
; %bb.15:
	v_cmp_gt_i32_e32 vcc, s12, v0
	v_ashrrev_i32_e32 v1, 31, v0
	s_and_saveexec_b64 s[0:1], vcc
	s_cbranch_execz .LBB2_25
; %bb.16:
	v_lshlrev_b64 v[4:5], 3, v[0:1]
	v_mov_b32_e32 v14, s15
	v_add_co_u32_e32 v4, vcc, s14, v4
	v_addc_co_u32_e32 v5, vcc, v14, v5, vcc
	v_cmp_gt_i32_e32 vcc, s13, v9
	s_and_saveexec_b64 s[2:3], vcc
	s_cbranch_execz .LBB2_18
; %bb.17:
	v_mad_u64_u32 v[14:15], s[4:5], s8, v9, 0
	v_mad_u64_u32 v[15:16], s[4:5], s9, v9, v[15:16]
	v_lshlrev_b64 v[14:15], 3, v[14:15]
	v_add_co_u32_e32 v14, vcc, v4, v14
	v_addc_co_u32_e32 v15, vcc, v5, v15, vcc
	global_load_dwordx2 v[14:15], v[14:15], off
	s_waitcnt vmcnt(0)
	v_cmp_gt_f64_e64 vcc, |v[14:15]|, v[2:3]
	v_addc_co_u32_e32 v8, vcc, 0, v8, vcc
.LBB2_18:
	s_or_b64 exec, exec, s[2:3]
	v_or_b32_e32 v14, 1, v9
	v_cmp_gt_i32_e32 vcc, s13, v14
	s_and_saveexec_b64 s[2:3], vcc
	s_cbranch_execz .LBB2_20
; %bb.19:
	v_mad_u64_u32 v[15:16], s[4:5], s8, v14, 0
	v_mad_u64_u32 v[16:17], s[4:5], s9, v14, v[16:17]
	v_lshlrev_b64 v[14:15], 3, v[15:16]
	v_add_co_u32_e32 v14, vcc, v4, v14
	v_addc_co_u32_e32 v15, vcc, v5, v15, vcc
	global_load_dwordx2 v[14:15], v[14:15], off
	s_waitcnt vmcnt(0)
	v_cmp_gt_f64_e64 vcc, |v[14:15]|, v[2:3]
	v_addc_co_u32_e32 v8, vcc, 0, v8, vcc
.LBB2_20:
	s_or_b64 exec, exec, s[2:3]
	v_or_b32_e32 v14, 2, v9
	;; [unrolled: 16-line block ×3, first 2 shown]
	v_cmp_gt_i32_e32 vcc, s13, v14
	s_and_saveexec_b64 s[2:3], vcc
	s_cbranch_execz .LBB2_24
; %bb.23:
	v_mad_u64_u32 v[15:16], s[4:5], s8, v14, 0
	v_mad_u64_u32 v[16:17], s[4:5], s9, v14, v[16:17]
	v_lshlrev_b64 v[14:15], 3, v[15:16]
	v_add_co_u32_e32 v4, vcc, v4, v14
	v_addc_co_u32_e32 v5, vcc, v5, v15, vcc
	global_load_dwordx2 v[4:5], v[4:5], off
	s_waitcnt vmcnt(0)
	v_cmp_gt_f64_e64 vcc, |v[4:5]|, v[2:3]
	v_addc_co_u32_e32 v8, vcc, 0, v8, vcc
.LBB2_24:
	s_or_b64 exec, exec, s[2:3]
.LBB2_25:
	s_or_b64 exec, exec, s[0:1]
	v_cmp_gt_i32_e32 vcc, s12, v13
	s_and_saveexec_b64 s[0:1], vcc
	s_cbranch_execz .LBB2_35
; %bb.26:
	v_lshlrev_b64 v[4:5], 3, v[0:1]
	v_mov_b32_e32 v13, s15
	v_add_co_u32_e32 v4, vcc, s14, v4
	v_addc_co_u32_e32 v5, vcc, v13, v5, vcc
	v_cmp_gt_i32_e32 vcc, s13, v9
	s_and_saveexec_b64 s[2:3], vcc
	s_cbranch_execz .LBB2_28
; %bb.27:
	v_mad_u64_u32 v[13:14], s[4:5], s8, v9, 0
	v_mad_u64_u32 v[14:15], s[4:5], s9, v9, v[14:15]
	v_lshlrev_b64 v[13:14], 3, v[13:14]
	v_add_co_u32_e32 v13, vcc, v4, v13
	v_addc_co_u32_e32 v14, vcc, v5, v14, vcc
	global_load_dwordx2 v[13:14], v[13:14], off offset:512
	s_waitcnt vmcnt(0)
	v_cmp_gt_f64_e64 vcc, |v[13:14]|, v[2:3]
	v_addc_co_u32_e32 v10, vcc, 0, v10, vcc
.LBB2_28:
	s_or_b64 exec, exec, s[2:3]
	v_or_b32_e32 v13, 1, v9
	v_cmp_gt_i32_e32 vcc, s13, v13
	s_and_saveexec_b64 s[2:3], vcc
	s_cbranch_execz .LBB2_30
; %bb.29:
	v_mad_u64_u32 v[14:15], s[4:5], s8, v13, 0
	v_mad_u64_u32 v[15:16], s[4:5], s9, v13, v[15:16]
	v_lshlrev_b64 v[13:14], 3, v[14:15]
	v_add_co_u32_e32 v13, vcc, v4, v13
	v_addc_co_u32_e32 v14, vcc, v5, v14, vcc
	global_load_dwordx2 v[13:14], v[13:14], off offset:512
	s_waitcnt vmcnt(0)
	v_cmp_gt_f64_e64 vcc, |v[13:14]|, v[2:3]
	v_addc_co_u32_e32 v10, vcc, 0, v10, vcc
.LBB2_30:
	s_or_b64 exec, exec, s[2:3]
	v_or_b32_e32 v13, 2, v9
	v_cmp_gt_i32_e32 vcc, s13, v13
	s_and_saveexec_b64 s[2:3], vcc
	s_cbranch_execz .LBB2_32
; %bb.31:
	v_mad_u64_u32 v[14:15], s[4:5], s8, v13, 0
	v_mad_u64_u32 v[15:16], s[4:5], s9, v13, v[15:16]
	v_lshlrev_b64 v[13:14], 3, v[14:15]
	v_add_co_u32_e32 v13, vcc, v4, v13
	v_addc_co_u32_e32 v14, vcc, v5, v14, vcc
	global_load_dwordx2 v[13:14], v[13:14], off offset:512
	s_waitcnt vmcnt(0)
	v_cmp_gt_f64_e64 vcc, |v[13:14]|, v[2:3]
	v_addc_co_u32_e32 v10, vcc, 0, v10, vcc
.LBB2_32:
	s_or_b64 exec, exec, s[2:3]
	v_or_b32_e32 v13, 3, v9
	v_cmp_gt_i32_e32 vcc, s13, v13
	s_and_saveexec_b64 s[2:3], vcc
	s_cbranch_execz .LBB2_34
; %bb.33:
	v_mad_u64_u32 v[14:15], s[4:5], s8, v13, 0
	v_mad_u64_u32 v[15:16], s[4:5], s9, v13, v[15:16]
	v_lshlrev_b64 v[13:14], 3, v[14:15]
	v_add_co_u32_e32 v4, vcc, v4, v13
	v_addc_co_u32_e32 v5, vcc, v5, v14, vcc
	global_load_dwordx2 v[4:5], v[4:5], off offset:512
	s_waitcnt vmcnt(0)
	v_cmp_gt_f64_e64 vcc, |v[4:5]|, v[2:3]
	v_addc_co_u32_e32 v10, vcc, 0, v10, vcc
.LBB2_34:
	s_or_b64 exec, exec, s[2:3]
.LBB2_35:
	s_or_b64 exec, exec, s[0:1]
	v_or_b32_e32 v4, 0x80, v0
	v_cmp_gt_i32_e32 vcc, s12, v4
	s_and_saveexec_b64 s[0:1], vcc
	s_cbranch_execz .LBB2_45
; %bb.36:
	v_lshlrev_b64 v[4:5], 3, v[0:1]
	v_mov_b32_e32 v13, s15
	v_add_co_u32_e32 v4, vcc, s14, v4
	v_addc_co_u32_e32 v5, vcc, v13, v5, vcc
	v_cmp_gt_i32_e32 vcc, s13, v9
	s_and_saveexec_b64 s[2:3], vcc
	s_cbranch_execz .LBB2_38
; %bb.37:
	v_mad_u64_u32 v[13:14], s[4:5], s8, v9, 0
	v_mad_u64_u32 v[14:15], s[4:5], s9, v9, v[14:15]
	v_lshlrev_b64 v[13:14], 3, v[13:14]
	v_add_co_u32_e32 v13, vcc, v4, v13
	v_addc_co_u32_e32 v14, vcc, v5, v14, vcc
	global_load_dwordx2 v[13:14], v[13:14], off offset:1024
	s_waitcnt vmcnt(0)
	v_cmp_gt_f64_e64 vcc, |v[13:14]|, v[2:3]
	v_addc_co_u32_e32 v11, vcc, 0, v11, vcc
.LBB2_38:
	s_or_b64 exec, exec, s[2:3]
	v_or_b32_e32 v13, 1, v9
	v_cmp_gt_i32_e32 vcc, s13, v13
	s_and_saveexec_b64 s[2:3], vcc
	s_cbranch_execz .LBB2_40
; %bb.39:
	v_mad_u64_u32 v[14:15], s[4:5], s8, v13, 0
	v_mad_u64_u32 v[15:16], s[4:5], s9, v13, v[15:16]
	v_lshlrev_b64 v[13:14], 3, v[14:15]
	v_add_co_u32_e32 v13, vcc, v4, v13
	v_addc_co_u32_e32 v14, vcc, v5, v14, vcc
	global_load_dwordx2 v[13:14], v[13:14], off offset:1024
	s_waitcnt vmcnt(0)
	v_cmp_gt_f64_e64 vcc, |v[13:14]|, v[2:3]
	v_addc_co_u32_e32 v11, vcc, 0, v11, vcc
.LBB2_40:
	s_or_b64 exec, exec, s[2:3]
	v_or_b32_e32 v13, 2, v9
	;; [unrolled: 16-line block ×3, first 2 shown]
	v_cmp_gt_i32_e32 vcc, s13, v13
	s_and_saveexec_b64 s[2:3], vcc
	s_cbranch_execz .LBB2_44
; %bb.43:
	v_mad_u64_u32 v[14:15], s[4:5], s8, v13, 0
	v_mad_u64_u32 v[15:16], s[4:5], s9, v13, v[15:16]
	v_lshlrev_b64 v[13:14], 3, v[14:15]
	v_add_co_u32_e32 v4, vcc, v4, v13
	v_addc_co_u32_e32 v5, vcc, v5, v14, vcc
	global_load_dwordx2 v[4:5], v[4:5], off offset:1024
	s_waitcnt vmcnt(0)
	v_cmp_gt_f64_e64 vcc, |v[4:5]|, v[2:3]
	v_addc_co_u32_e32 v11, vcc, 0, v11, vcc
.LBB2_44:
	s_or_b64 exec, exec, s[2:3]
.LBB2_45:
	s_or_b64 exec, exec, s[0:1]
	v_or_b32_e32 v4, 0xc0, v0
	v_cmp_gt_i32_e32 vcc, s12, v4
	s_and_saveexec_b64 s[0:1], vcc
	s_cbranch_execz .LBB2_55
; %bb.46:
	v_lshlrev_b64 v[0:1], 3, v[0:1]
	v_mov_b32_e32 v4, s15
	v_add_co_u32_e32 v0, vcc, s14, v0
	v_addc_co_u32_e32 v1, vcc, v4, v1, vcc
	v_cmp_gt_i32_e32 vcc, s13, v9
	s_and_saveexec_b64 s[2:3], vcc
	s_cbranch_execz .LBB2_48
; %bb.47:
	v_mad_u64_u32 v[4:5], s[4:5], s8, v9, 0
	v_mad_u64_u32 v[13:14], s[4:5], s9, v9, v[5:6]
	v_mov_b32_e32 v5, v13
	v_lshlrev_b64 v[4:5], 3, v[4:5]
	v_add_co_u32_e32 v4, vcc, v0, v4
	v_addc_co_u32_e32 v5, vcc, v1, v5, vcc
	global_load_dwordx2 v[4:5], v[4:5], off offset:1536
	s_waitcnt vmcnt(0)
	v_cmp_gt_f64_e64 vcc, |v[4:5]|, v[2:3]
	v_addc_co_u32_e32 v12, vcc, 0, v12, vcc
.LBB2_48:
	s_or_b64 exec, exec, s[2:3]
	v_or_b32_e32 v4, 1, v9
	v_cmp_gt_i32_e32 vcc, s13, v4
	s_and_saveexec_b64 s[2:3], vcc
	s_cbranch_execz .LBB2_50
; %bb.49:
	v_mad_u64_u32 v[13:14], s[4:5], s8, v4, 0
	v_mov_b32_e32 v5, v14
	v_mad_u64_u32 v[4:5], s[4:5], s9, v4, v[5:6]
	v_mov_b32_e32 v14, v4
	v_lshlrev_b64 v[4:5], 3, v[13:14]
	v_add_co_u32_e32 v4, vcc, v0, v4
	v_addc_co_u32_e32 v5, vcc, v1, v5, vcc
	global_load_dwordx2 v[4:5], v[4:5], off offset:1536
	s_waitcnt vmcnt(0)
	v_cmp_gt_f64_e64 vcc, |v[4:5]|, v[2:3]
	v_addc_co_u32_e32 v12, vcc, 0, v12, vcc
.LBB2_50:
	s_or_b64 exec, exec, s[2:3]
	v_or_b32_e32 v4, 2, v9
	v_cmp_gt_i32_e32 vcc, s13, v4
	s_and_saveexec_b64 s[2:3], vcc
	s_cbranch_execz .LBB2_52
; %bb.51:
	v_mad_u64_u32 v[13:14], s[4:5], s8, v4, 0
	v_mov_b32_e32 v5, v14
	v_mad_u64_u32 v[4:5], s[4:5], s9, v4, v[5:6]
	v_mov_b32_e32 v14, v4
	v_lshlrev_b64 v[4:5], 3, v[13:14]
	v_add_co_u32_e32 v4, vcc, v0, v4
	v_addc_co_u32_e32 v5, vcc, v1, v5, vcc
	global_load_dwordx2 v[4:5], v[4:5], off offset:1536
	s_waitcnt vmcnt(0)
	v_cmp_gt_f64_e64 vcc, |v[4:5]|, v[2:3]
	v_addc_co_u32_e32 v12, vcc, 0, v12, vcc
.LBB2_52:
	;; [unrolled: 18-line block ×3, first 2 shown]
	s_or_b64 exec, exec, s[2:3]
.LBB2_55:
	s_or_b64 exec, exec, s[0:1]
.LBB2_56:
	v_lshlrev_b32_e32 v0, 4, v6
	v_lshlrev_b32_e32 v1, 2, v7
	s_mov_b32 s0, 0x7ffffc00
	v_and_or_b32 v0, v0, s0, v1
	s_movk_i32 s0, 0x100
	v_cmp_gt_u32_e32 vcc, s0, v6
	ds_write2st64_b32 v0, v8, v10 offset1:1
	ds_write2st64_b32 v0, v11, v12 offset0:2 offset1:3
	s_waitcnt vmcnt(0) lgkmcnt(0)
	s_barrier
	s_and_saveexec_b64 s[0:1], vcc
	s_cbranch_execz .LBB2_59
; %bb.57:
	v_lshlrev_b32_e32 v11, 2, v6
	ds_read2st64_b32 v[1:2], v11 offset1:4
	ds_read2st64_b32 v[3:4], v11 offset0:8 offset1:12
	ds_read2st64_b32 v[7:8], v11 offset0:16 offset1:20
	v_or_b32_e32 v0, s24, v6
	ds_read2st64_b32 v[5:6], v11 offset0:24 offset1:28
	s_waitcnt lgkmcnt(3)
	v_add_u32_e32 v1, v2, v1
	s_waitcnt lgkmcnt(2)
	v_add3_u32 v1, v1, v3, v4
	s_waitcnt lgkmcnt(1)
	v_add3_u32 v12, v1, v7, v8
	ds_read2st64_b32 v[1:2], v11 offset0:32 offset1:36
	ds_read2st64_b32 v[3:4], v11 offset0:40 offset1:44
	;; [unrolled: 1-line block ×4, first 2 shown]
	s_waitcnt lgkmcnt(4)
	v_add3_u32 v5, v12, v5, v6
	s_waitcnt lgkmcnt(3)
	v_add3_u32 v1, v5, v1, v2
	;; [unrolled: 2-line block ×5, first 2 shown]
	v_cmp_gt_i32_e32 vcc, s12, v0
	ds_write_b32 v11, v2
	s_and_b64 exec, exec, vcc
	s_cbranch_execz .LBB2_59
; %bb.58:
	v_ashrrev_i32_e32 v1, 31, v0
	v_lshlrev_b64 v[0:1], 2, v[0:1]
	v_mov_b32_e32 v3, s11
	v_add_co_u32_e32 v0, vcc, s10, v0
	v_addc_co_u32_e32 v1, vcc, v3, v1, vcc
	global_store_dword v[0:1], v2, off
.LBB2_59:
	s_endpgm
	.section	.rodata,"a",@progbits
	.p2align	6, 0x0
	.amdhsa_kernel _ZN9rocsparseL26prune_dense2csr_nnz_kernelILi64ELi16EdEEviiPKT1_lNS_24const_host_device_scalarIS1_EEPib
		.amdhsa_group_segment_fixed_size 16384
		.amdhsa_private_segment_fixed_size 0
		.amdhsa_kernarg_size 304
		.amdhsa_user_sgpr_count 6
		.amdhsa_user_sgpr_private_segment_buffer 1
		.amdhsa_user_sgpr_dispatch_ptr 0
		.amdhsa_user_sgpr_queue_ptr 0
		.amdhsa_user_sgpr_kernarg_segment_ptr 1
		.amdhsa_user_sgpr_dispatch_id 0
		.amdhsa_user_sgpr_flat_scratch_init 0
		.amdhsa_user_sgpr_private_segment_size 0
		.amdhsa_uses_dynamic_stack 0
		.amdhsa_system_sgpr_private_segment_wavefront_offset 0
		.amdhsa_system_sgpr_workgroup_id_x 1
		.amdhsa_system_sgpr_workgroup_id_y 0
		.amdhsa_system_sgpr_workgroup_id_z 0
		.amdhsa_system_sgpr_workgroup_info 0
		.amdhsa_system_vgpr_workitem_id 1
		.amdhsa_next_free_vgpr 29
		.amdhsa_next_free_sgpr 61
		.amdhsa_reserve_vcc 1
		.amdhsa_reserve_flat_scratch 0
		.amdhsa_float_round_mode_32 0
		.amdhsa_float_round_mode_16_64 0
		.amdhsa_float_denorm_mode_32 3
		.amdhsa_float_denorm_mode_16_64 3
		.amdhsa_dx10_clamp 1
		.amdhsa_ieee_mode 1
		.amdhsa_fp16_overflow 0
		.amdhsa_exception_fp_ieee_invalid_op 0
		.amdhsa_exception_fp_denorm_src 0
		.amdhsa_exception_fp_ieee_div_zero 0
		.amdhsa_exception_fp_ieee_overflow 0
		.amdhsa_exception_fp_ieee_underflow 0
		.amdhsa_exception_fp_ieee_inexact 0
		.amdhsa_exception_int_div_zero 0
	.end_amdhsa_kernel
	.section	.text._ZN9rocsparseL26prune_dense2csr_nnz_kernelILi64ELi16EdEEviiPKT1_lNS_24const_host_device_scalarIS1_EEPib,"axG",@progbits,_ZN9rocsparseL26prune_dense2csr_nnz_kernelILi64ELi16EdEEviiPKT1_lNS_24const_host_device_scalarIS1_EEPib,comdat
.Lfunc_end2:
	.size	_ZN9rocsparseL26prune_dense2csr_nnz_kernelILi64ELi16EdEEviiPKT1_lNS_24const_host_device_scalarIS1_EEPib, .Lfunc_end2-_ZN9rocsparseL26prune_dense2csr_nnz_kernelILi64ELi16EdEEviiPKT1_lNS_24const_host_device_scalarIS1_EEPib
                                        ; -- End function
	.set _ZN9rocsparseL26prune_dense2csr_nnz_kernelILi64ELi16EdEEviiPKT1_lNS_24const_host_device_scalarIS1_EEPib.num_vgpr, 29
	.set _ZN9rocsparseL26prune_dense2csr_nnz_kernelILi64ELi16EdEEviiPKT1_lNS_24const_host_device_scalarIS1_EEPib.num_agpr, 0
	.set _ZN9rocsparseL26prune_dense2csr_nnz_kernelILi64ELi16EdEEviiPKT1_lNS_24const_host_device_scalarIS1_EEPib.numbered_sgpr, 26
	.set _ZN9rocsparseL26prune_dense2csr_nnz_kernelILi64ELi16EdEEviiPKT1_lNS_24const_host_device_scalarIS1_EEPib.num_named_barrier, 0
	.set _ZN9rocsparseL26prune_dense2csr_nnz_kernelILi64ELi16EdEEviiPKT1_lNS_24const_host_device_scalarIS1_EEPib.private_seg_size, 0
	.set _ZN9rocsparseL26prune_dense2csr_nnz_kernelILi64ELi16EdEEviiPKT1_lNS_24const_host_device_scalarIS1_EEPib.uses_vcc, 1
	.set _ZN9rocsparseL26prune_dense2csr_nnz_kernelILi64ELi16EdEEviiPKT1_lNS_24const_host_device_scalarIS1_EEPib.uses_flat_scratch, 0
	.set _ZN9rocsparseL26prune_dense2csr_nnz_kernelILi64ELi16EdEEviiPKT1_lNS_24const_host_device_scalarIS1_EEPib.has_dyn_sized_stack, 0
	.set _ZN9rocsparseL26prune_dense2csr_nnz_kernelILi64ELi16EdEEviiPKT1_lNS_24const_host_device_scalarIS1_EEPib.has_recursion, 0
	.set _ZN9rocsparseL26prune_dense2csr_nnz_kernelILi64ELi16EdEEviiPKT1_lNS_24const_host_device_scalarIS1_EEPib.has_indirect_call, 0
	.section	.AMDGPU.csdata,"",@progbits
; Kernel info:
; codeLenInByte = 3080
; TotalNumSgprs: 30
; NumVgprs: 29
; ScratchSize: 0
; MemoryBound: 0
; FloatMode: 240
; IeeeMode: 1
; LDSByteSize: 16384 bytes/workgroup (compile time only)
; SGPRBlocks: 8
; VGPRBlocks: 7
; NumSGPRsForWavesPerEU: 65
; NumVGPRsForWavesPerEU: 29
; Occupancy: 8
; WaveLimiterHint : 0
; COMPUTE_PGM_RSRC2:SCRATCH_EN: 0
; COMPUTE_PGM_RSRC2:USER_SGPR: 6
; COMPUTE_PGM_RSRC2:TRAP_HANDLER: 0
; COMPUTE_PGM_RSRC2:TGID_X_EN: 1
; COMPUTE_PGM_RSRC2:TGID_Y_EN: 0
; COMPUTE_PGM_RSRC2:TGID_Z_EN: 0
; COMPUTE_PGM_RSRC2:TIDIG_COMP_CNT: 1
	.section	.text._ZN9rocsparseL22prune_dense2csr_kernelILi16ELi32EfEEv21rocsparse_index_base_iiPKT1_lNS_24const_host_device_scalarIS2_EEPS2_PKiPib,"axG",@progbits,_ZN9rocsparseL22prune_dense2csr_kernelILi16ELi32EfEEv21rocsparse_index_base_iiPKT1_lNS_24const_host_device_scalarIS2_EEPS2_PKiPib,comdat
	.globl	_ZN9rocsparseL22prune_dense2csr_kernelILi16ELi32EfEEv21rocsparse_index_base_iiPKT1_lNS_24const_host_device_scalarIS2_EEPS2_PKiPib ; -- Begin function _ZN9rocsparseL22prune_dense2csr_kernelILi16ELi32EfEEv21rocsparse_index_base_iiPKT1_lNS_24const_host_device_scalarIS2_EEPS2_PKiPib
	.p2align	8
	.type	_ZN9rocsparseL22prune_dense2csr_kernelILi16ELi32EfEEv21rocsparse_index_base_iiPKT1_lNS_24const_host_device_scalarIS2_EEPS2_PKiPib,@function
_ZN9rocsparseL22prune_dense2csr_kernelILi16ELi32EfEEv21rocsparse_index_base_iiPKT1_lNS_24const_host_device_scalarIS2_EEPS2_PKiPib: ; @_ZN9rocsparseL22prune_dense2csr_kernelILi16ELi32EfEEv21rocsparse_index_base_iiPKT1_lNS_24const_host_device_scalarIS2_EEPS2_PKiPib
; %bb.0:
	s_load_dword s7, s[4:5], 0x40
	s_load_dwordx4 s[0:3], s[4:5], 0x18
	s_waitcnt lgkmcnt(0)
	s_bitcmp1_b32 s7, 0
	s_cselect_b64 s[8:9], -1, 0
	s_and_b64 vcc, exec, s[8:9]
	s_cbranch_vccnz .LBB3_2
; %bb.1:
	s_load_dword s2, s[2:3], 0x0
.LBB3_2:
	s_nop 0
	s_load_dwordx4 s[8:11], s[4:5], 0x0
	v_lshrrev_b32_e32 v1, 5, v0
	v_lshl_or_b32 v1, s6, 4, v1
	s_waitcnt lgkmcnt(0)
	v_cmp_gt_i32_e32 vcc, s9, v1
	s_and_saveexec_b64 s[6:7], vcc
	s_cbranch_execz .LBB3_8
; %bb.3:
	v_and_b32_e32 v3, 31, v0
	v_cmp_gt_i32_e32 vcc, s10, v3
	s_and_b64 exec, exec, vcc
	s_cbranch_execz .LBB3_8
; %bb.4:
	s_load_dwordx4 s[12:15], s[4:5], 0x28
	v_ashrrev_i32_e32 v2, 31, v1
	v_lshlrev_b64 v[0:1], 2, v[1:2]
	s_waitcnt lgkmcnt(0)
	v_mov_b32_e32 v2, s15
	v_add_co_u32_e32 v4, vcc, s14, v0
	v_addc_co_u32_e32 v5, vcc, v2, v1, vcc
	global_load_dword v8, v[4:5], off
	s_load_dwordx2 s[14:15], s[4:5], 0x10
	s_load_dwordx2 s[6:7], s[4:5], 0x38
	v_mad_u64_u32 v[5:6], s[4:5], s0, v3, 0
	v_mbcnt_lo_u32_b32 v4, -1, 0
	v_mbcnt_hi_u32_b32 v4, -1, v4
	v_lshlrev_b32_e32 v9, 2, v4
	v_mov_b32_e32 v4, v6
	s_lshl_b64 s[4:5], s[0:1], 7
	v_mad_u64_u32 v[6:7], s[0:1], s1, v3, v[4:5]
	v_xor_b32_e32 v2, 31, v3
	v_and_b32_e32 v4, 0x100, v9
	v_lshlrev_b64 v[5:6], 2, v[5:6]
	s_waitcnt lgkmcnt(0)
	v_mov_b32_e32 v7, s15
	v_add_co_u32_e32 v0, vcc, v5, v0
	v_addc_co_u32_e32 v1, vcc, v6, v1, vcc
	v_add_co_u32_e32 v0, vcc, s14, v0
	v_lshrrev_b32_e64 v2, v2, -1
	v_or_b32_e32 v4, 0x7c, v4
	v_addc_co_u32_e32 v1, vcc, v7, v1, vcc
	s_mov_b64 s[0:1], 0
	s_waitcnt vmcnt(0)
	v_subrev_u32_e32 v5, s8, v8
	s_branch .LBB3_6
.LBB3_5:                                ;   in Loop: Header=BB3_6 Depth=1
	s_or_b64 exec, exec, s[14:15]
	ds_bpermute_b32 v6, v4, v6
	v_add_u32_e32 v3, 32, v3
	v_cmp_le_i32_e32 vcc, s10, v3
	v_mov_b32_e32 v7, s5
	s_or_b64 s[0:1], vcc, s[0:1]
	v_add_co_u32_e32 v0, vcc, s4, v0
	s_waitcnt lgkmcnt(0)
	v_add_u32_e32 v5, v6, v5
	v_addc_co_u32_e32 v1, vcc, v1, v7, vcc
	s_andn2_b64 exec, exec, s[0:1]
	s_cbranch_execz .LBB3_8
.LBB3_6:                                ; =>This Inner Loop Header: Depth=1
	s_waitcnt vmcnt(0)
	s_barrier
	global_load_dword v7, v[0:1], off
	s_waitcnt vmcnt(0)
	v_cmp_gt_f32_e64 s[16:17], |v7|, s2
	v_and_b32_e32 v6, s16, v2
	v_bcnt_u32_b32 v6, v6, 0
	s_and_saveexec_b64 s[14:15], s[16:17]
	s_cbranch_execz .LBB3_5
; %bb.7:                                ;   in Loop: Header=BB3_6 Depth=1
	v_ashrrev_i32_e32 v9, 31, v5
	v_add_co_u32_e32 v8, vcc, v5, v6
	v_addc_co_u32_e32 v9, vcc, 0, v9, vcc
	v_lshlrev_b64 v[8:9], 2, v[8:9]
	v_mov_b32_e32 v11, s13
	v_add_co_u32_e32 v10, vcc, s12, v8
	v_addc_co_u32_e32 v11, vcc, v11, v9, vcc
	global_store_dword v[10:11], v7, off offset:-4
	v_mov_b32_e32 v11, s7
	v_add_co_u32_e32 v7, vcc, s6, v8
	v_add_u32_e32 v10, s8, v3
	v_addc_co_u32_e32 v8, vcc, v11, v9, vcc
	global_store_dword v[7:8], v10, off offset:-4
	s_branch .LBB3_5
.LBB3_8:
	s_endpgm
	.section	.rodata,"a",@progbits
	.p2align	6, 0x0
	.amdhsa_kernel _ZN9rocsparseL22prune_dense2csr_kernelILi16ELi32EfEEv21rocsparse_index_base_iiPKT1_lNS_24const_host_device_scalarIS2_EEPS2_PKiPib
		.amdhsa_group_segment_fixed_size 0
		.amdhsa_private_segment_fixed_size 0
		.amdhsa_kernarg_size 68
		.amdhsa_user_sgpr_count 6
		.amdhsa_user_sgpr_private_segment_buffer 1
		.amdhsa_user_sgpr_dispatch_ptr 0
		.amdhsa_user_sgpr_queue_ptr 0
		.amdhsa_user_sgpr_kernarg_segment_ptr 1
		.amdhsa_user_sgpr_dispatch_id 0
		.amdhsa_user_sgpr_flat_scratch_init 0
		.amdhsa_user_sgpr_private_segment_size 0
		.amdhsa_uses_dynamic_stack 0
		.amdhsa_system_sgpr_private_segment_wavefront_offset 0
		.amdhsa_system_sgpr_workgroup_id_x 1
		.amdhsa_system_sgpr_workgroup_id_y 0
		.amdhsa_system_sgpr_workgroup_id_z 0
		.amdhsa_system_sgpr_workgroup_info 0
		.amdhsa_system_vgpr_workitem_id 0
		.amdhsa_next_free_vgpr 12
		.amdhsa_next_free_sgpr 18
		.amdhsa_reserve_vcc 1
		.amdhsa_reserve_flat_scratch 0
		.amdhsa_float_round_mode_32 0
		.amdhsa_float_round_mode_16_64 0
		.amdhsa_float_denorm_mode_32 3
		.amdhsa_float_denorm_mode_16_64 3
		.amdhsa_dx10_clamp 1
		.amdhsa_ieee_mode 1
		.amdhsa_fp16_overflow 0
		.amdhsa_exception_fp_ieee_invalid_op 0
		.amdhsa_exception_fp_denorm_src 0
		.amdhsa_exception_fp_ieee_div_zero 0
		.amdhsa_exception_fp_ieee_overflow 0
		.amdhsa_exception_fp_ieee_underflow 0
		.amdhsa_exception_fp_ieee_inexact 0
		.amdhsa_exception_int_div_zero 0
	.end_amdhsa_kernel
	.section	.text._ZN9rocsparseL22prune_dense2csr_kernelILi16ELi32EfEEv21rocsparse_index_base_iiPKT1_lNS_24const_host_device_scalarIS2_EEPS2_PKiPib,"axG",@progbits,_ZN9rocsparseL22prune_dense2csr_kernelILi16ELi32EfEEv21rocsparse_index_base_iiPKT1_lNS_24const_host_device_scalarIS2_EEPS2_PKiPib,comdat
.Lfunc_end3:
	.size	_ZN9rocsparseL22prune_dense2csr_kernelILi16ELi32EfEEv21rocsparse_index_base_iiPKT1_lNS_24const_host_device_scalarIS2_EEPS2_PKiPib, .Lfunc_end3-_ZN9rocsparseL22prune_dense2csr_kernelILi16ELi32EfEEv21rocsparse_index_base_iiPKT1_lNS_24const_host_device_scalarIS2_EEPS2_PKiPib
                                        ; -- End function
	.set _ZN9rocsparseL22prune_dense2csr_kernelILi16ELi32EfEEv21rocsparse_index_base_iiPKT1_lNS_24const_host_device_scalarIS2_EEPS2_PKiPib.num_vgpr, 12
	.set _ZN9rocsparseL22prune_dense2csr_kernelILi16ELi32EfEEv21rocsparse_index_base_iiPKT1_lNS_24const_host_device_scalarIS2_EEPS2_PKiPib.num_agpr, 0
	.set _ZN9rocsparseL22prune_dense2csr_kernelILi16ELi32EfEEv21rocsparse_index_base_iiPKT1_lNS_24const_host_device_scalarIS2_EEPS2_PKiPib.numbered_sgpr, 18
	.set _ZN9rocsparseL22prune_dense2csr_kernelILi16ELi32EfEEv21rocsparse_index_base_iiPKT1_lNS_24const_host_device_scalarIS2_EEPS2_PKiPib.num_named_barrier, 0
	.set _ZN9rocsparseL22prune_dense2csr_kernelILi16ELi32EfEEv21rocsparse_index_base_iiPKT1_lNS_24const_host_device_scalarIS2_EEPS2_PKiPib.private_seg_size, 0
	.set _ZN9rocsparseL22prune_dense2csr_kernelILi16ELi32EfEEv21rocsparse_index_base_iiPKT1_lNS_24const_host_device_scalarIS2_EEPS2_PKiPib.uses_vcc, 1
	.set _ZN9rocsparseL22prune_dense2csr_kernelILi16ELi32EfEEv21rocsparse_index_base_iiPKT1_lNS_24const_host_device_scalarIS2_EEPS2_PKiPib.uses_flat_scratch, 0
	.set _ZN9rocsparseL22prune_dense2csr_kernelILi16ELi32EfEEv21rocsparse_index_base_iiPKT1_lNS_24const_host_device_scalarIS2_EEPS2_PKiPib.has_dyn_sized_stack, 0
	.set _ZN9rocsparseL22prune_dense2csr_kernelILi16ELi32EfEEv21rocsparse_index_base_iiPKT1_lNS_24const_host_device_scalarIS2_EEPS2_PKiPib.has_recursion, 0
	.set _ZN9rocsparseL22prune_dense2csr_kernelILi16ELi32EfEEv21rocsparse_index_base_iiPKT1_lNS_24const_host_device_scalarIS2_EEPS2_PKiPib.has_indirect_call, 0
	.section	.AMDGPU.csdata,"",@progbits
; Kernel info:
; codeLenInByte = 452
; TotalNumSgprs: 22
; NumVgprs: 12
; ScratchSize: 0
; MemoryBound: 0
; FloatMode: 240
; IeeeMode: 1
; LDSByteSize: 0 bytes/workgroup (compile time only)
; SGPRBlocks: 2
; VGPRBlocks: 2
; NumSGPRsForWavesPerEU: 22
; NumVGPRsForWavesPerEU: 12
; Occupancy: 10
; WaveLimiterHint : 0
; COMPUTE_PGM_RSRC2:SCRATCH_EN: 0
; COMPUTE_PGM_RSRC2:USER_SGPR: 6
; COMPUTE_PGM_RSRC2:TRAP_HANDLER: 0
; COMPUTE_PGM_RSRC2:TGID_X_EN: 1
; COMPUTE_PGM_RSRC2:TGID_Y_EN: 0
; COMPUTE_PGM_RSRC2:TGID_Z_EN: 0
; COMPUTE_PGM_RSRC2:TIDIG_COMP_CNT: 0
	.section	.text._ZN9rocsparseL22prune_dense2csr_kernelILi16ELi64EfEEv21rocsparse_index_base_iiPKT1_lNS_24const_host_device_scalarIS2_EEPS2_PKiPib,"axG",@progbits,_ZN9rocsparseL22prune_dense2csr_kernelILi16ELi64EfEEv21rocsparse_index_base_iiPKT1_lNS_24const_host_device_scalarIS2_EEPS2_PKiPib,comdat
	.globl	_ZN9rocsparseL22prune_dense2csr_kernelILi16ELi64EfEEv21rocsparse_index_base_iiPKT1_lNS_24const_host_device_scalarIS2_EEPS2_PKiPib ; -- Begin function _ZN9rocsparseL22prune_dense2csr_kernelILi16ELi64EfEEv21rocsparse_index_base_iiPKT1_lNS_24const_host_device_scalarIS2_EEPS2_PKiPib
	.p2align	8
	.type	_ZN9rocsparseL22prune_dense2csr_kernelILi16ELi64EfEEv21rocsparse_index_base_iiPKT1_lNS_24const_host_device_scalarIS2_EEPS2_PKiPib,@function
_ZN9rocsparseL22prune_dense2csr_kernelILi16ELi64EfEEv21rocsparse_index_base_iiPKT1_lNS_24const_host_device_scalarIS2_EEPS2_PKiPib: ; @_ZN9rocsparseL22prune_dense2csr_kernelILi16ELi64EfEEv21rocsparse_index_base_iiPKT1_lNS_24const_host_device_scalarIS2_EEPS2_PKiPib
; %bb.0:
	s_load_dword s7, s[4:5], 0x40
	s_load_dwordx4 s[0:3], s[4:5], 0x18
	s_waitcnt lgkmcnt(0)
	s_bitcmp1_b32 s7, 0
	s_cselect_b64 s[8:9], -1, 0
	s_and_b64 vcc, exec, s[8:9]
	s_cbranch_vccnz .LBB4_2
; %bb.1:
	s_load_dword s2, s[2:3], 0x0
.LBB4_2:
	s_nop 0
	s_load_dwordx4 s[8:11], s[4:5], 0x0
	v_lshrrev_b32_e32 v1, 6, v0
	v_lshl_or_b32 v1, s6, 4, v1
	s_waitcnt lgkmcnt(0)
	v_cmp_gt_i32_e32 vcc, s9, v1
	s_and_saveexec_b64 s[6:7], vcc
	s_cbranch_execz .LBB4_8
; %bb.3:
	v_and_b32_e32 v4, 63, v0
	v_cmp_gt_i32_e32 vcc, s10, v4
	s_and_b64 exec, exec, vcc
	s_cbranch_execz .LBB4_8
; %bb.4:
	s_load_dwordx4 s[12:15], s[4:5], 0x28
	v_ashrrev_i32_e32 v2, 31, v1
	v_lshlrev_b64 v[2:3], 2, v[1:2]
	v_mbcnt_lo_u32_b32 v10, -1, 0
	v_bfrev_b32_e32 v11, 0.5
	s_waitcnt lgkmcnt(0)
	v_mov_b32_e32 v1, s15
	v_add_co_u32_e32 v0, vcc, s14, v2
	v_addc_co_u32_e32 v1, vcc, v1, v3, vcc
	global_load_dword v9, v[0:1], off
	s_load_dwordx2 s[16:17], s[4:5], 0x10
	s_load_dwordx2 s[6:7], s[4:5], 0x38
	v_mad_u64_u32 v[6:7], s[4:5], s0, v4, 0
	s_lshl_b64 s[4:5], s[0:1], 8
	v_xor_b32_e32 v0, 63, v4
	v_mov_b32_e32 v5, v7
	v_mad_u64_u32 v[7:8], s[0:1], s1, v4, v[5:6]
	v_lshrrev_b64 v[0:1], v0, -1
	v_mbcnt_hi_u32_b32 v5, -1, v10
	v_lshlrev_b64 v[6:7], 2, v[6:7]
	s_waitcnt lgkmcnt(0)
	v_mov_b32_e32 v8, s17
	v_add_co_u32_e32 v2, vcc, v6, v2
	v_addc_co_u32_e32 v3, vcc, v7, v3, vcc
	v_add_co_u32_e32 v2, vcc, s16, v2
	s_mov_b64 s[14:15], 0
	v_lshl_or_b32 v5, v5, 2, v11
	v_addc_co_u32_e32 v3, vcc, v8, v3, vcc
	v_mov_b32_e32 v7, s5
	s_waitcnt vmcnt(0)
	v_subrev_u32_e32 v6, s8, v9
	s_branch .LBB4_6
.LBB4_5:                                ;   in Loop: Header=BB4_6 Depth=1
	s_or_b64 exec, exec, s[0:1]
	ds_bpermute_b32 v8, v5, v8
	v_add_u32_e32 v4, 64, v4
	v_cmp_le_i32_e32 vcc, s10, v4
	s_or_b64 s[14:15], vcc, s[14:15]
	v_add_co_u32_e32 v2, vcc, s4, v2
	s_waitcnt lgkmcnt(0)
	v_add_u32_e32 v6, v8, v6
	v_addc_co_u32_e32 v3, vcc, v3, v7, vcc
	s_andn2_b64 exec, exec, s[14:15]
	s_cbranch_execz .LBB4_8
.LBB4_6:                                ; =>This Inner Loop Header: Depth=1
	s_waitcnt vmcnt(0)
	s_barrier
	global_load_dword v9, v[2:3], off
	s_waitcnt vmcnt(0)
	v_cmp_gt_f32_e64 s[16:17], |v9|, s2
	v_and_b32_e32 v10, s16, v0
	v_and_b32_e32 v8, s17, v1
	v_bcnt_u32_b32 v10, v10, 0
	v_bcnt_u32_b32 v8, v8, v10
	s_and_saveexec_b64 s[0:1], s[16:17]
	s_cbranch_execz .LBB4_5
; %bb.7:                                ;   in Loop: Header=BB4_6 Depth=1
	v_ashrrev_i32_e32 v11, 31, v6
	v_add_co_u32_e32 v10, vcc, v6, v8
	v_addc_co_u32_e32 v11, vcc, 0, v11, vcc
	v_lshlrev_b64 v[10:11], 2, v[10:11]
	v_mov_b32_e32 v13, s13
	v_add_co_u32_e32 v12, vcc, s12, v10
	v_addc_co_u32_e32 v13, vcc, v13, v11, vcc
	global_store_dword v[12:13], v9, off offset:-4
	v_mov_b32_e32 v13, s7
	v_add_co_u32_e32 v9, vcc, s6, v10
	v_add_u32_e32 v12, s8, v4
	v_addc_co_u32_e32 v10, vcc, v13, v11, vcc
	global_store_dword v[9:10], v12, off offset:-4
	s_branch .LBB4_5
.LBB4_8:
	s_endpgm
	.section	.rodata,"a",@progbits
	.p2align	6, 0x0
	.amdhsa_kernel _ZN9rocsparseL22prune_dense2csr_kernelILi16ELi64EfEEv21rocsparse_index_base_iiPKT1_lNS_24const_host_device_scalarIS2_EEPS2_PKiPib
		.amdhsa_group_segment_fixed_size 0
		.amdhsa_private_segment_fixed_size 0
		.amdhsa_kernarg_size 68
		.amdhsa_user_sgpr_count 6
		.amdhsa_user_sgpr_private_segment_buffer 1
		.amdhsa_user_sgpr_dispatch_ptr 0
		.amdhsa_user_sgpr_queue_ptr 0
		.amdhsa_user_sgpr_kernarg_segment_ptr 1
		.amdhsa_user_sgpr_dispatch_id 0
		.amdhsa_user_sgpr_flat_scratch_init 0
		.amdhsa_user_sgpr_private_segment_size 0
		.amdhsa_uses_dynamic_stack 0
		.amdhsa_system_sgpr_private_segment_wavefront_offset 0
		.amdhsa_system_sgpr_workgroup_id_x 1
		.amdhsa_system_sgpr_workgroup_id_y 0
		.amdhsa_system_sgpr_workgroup_id_z 0
		.amdhsa_system_sgpr_workgroup_info 0
		.amdhsa_system_vgpr_workitem_id 0
		.amdhsa_next_free_vgpr 14
		.amdhsa_next_free_sgpr 18
		.amdhsa_reserve_vcc 1
		.amdhsa_reserve_flat_scratch 0
		.amdhsa_float_round_mode_32 0
		.amdhsa_float_round_mode_16_64 0
		.amdhsa_float_denorm_mode_32 3
		.amdhsa_float_denorm_mode_16_64 3
		.amdhsa_dx10_clamp 1
		.amdhsa_ieee_mode 1
		.amdhsa_fp16_overflow 0
		.amdhsa_exception_fp_ieee_invalid_op 0
		.amdhsa_exception_fp_denorm_src 0
		.amdhsa_exception_fp_ieee_div_zero 0
		.amdhsa_exception_fp_ieee_overflow 0
		.amdhsa_exception_fp_ieee_underflow 0
		.amdhsa_exception_fp_ieee_inexact 0
		.amdhsa_exception_int_div_zero 0
	.end_amdhsa_kernel
	.section	.text._ZN9rocsparseL22prune_dense2csr_kernelILi16ELi64EfEEv21rocsparse_index_base_iiPKT1_lNS_24const_host_device_scalarIS2_EEPS2_PKiPib,"axG",@progbits,_ZN9rocsparseL22prune_dense2csr_kernelILi16ELi64EfEEv21rocsparse_index_base_iiPKT1_lNS_24const_host_device_scalarIS2_EEPS2_PKiPib,comdat
.Lfunc_end4:
	.size	_ZN9rocsparseL22prune_dense2csr_kernelILi16ELi64EfEEv21rocsparse_index_base_iiPKT1_lNS_24const_host_device_scalarIS2_EEPS2_PKiPib, .Lfunc_end4-_ZN9rocsparseL22prune_dense2csr_kernelILi16ELi64EfEEv21rocsparse_index_base_iiPKT1_lNS_24const_host_device_scalarIS2_EEPS2_PKiPib
                                        ; -- End function
	.set _ZN9rocsparseL22prune_dense2csr_kernelILi16ELi64EfEEv21rocsparse_index_base_iiPKT1_lNS_24const_host_device_scalarIS2_EEPS2_PKiPib.num_vgpr, 14
	.set _ZN9rocsparseL22prune_dense2csr_kernelILi16ELi64EfEEv21rocsparse_index_base_iiPKT1_lNS_24const_host_device_scalarIS2_EEPS2_PKiPib.num_agpr, 0
	.set _ZN9rocsparseL22prune_dense2csr_kernelILi16ELi64EfEEv21rocsparse_index_base_iiPKT1_lNS_24const_host_device_scalarIS2_EEPS2_PKiPib.numbered_sgpr, 18
	.set _ZN9rocsparseL22prune_dense2csr_kernelILi16ELi64EfEEv21rocsparse_index_base_iiPKT1_lNS_24const_host_device_scalarIS2_EEPS2_PKiPib.num_named_barrier, 0
	.set _ZN9rocsparseL22prune_dense2csr_kernelILi16ELi64EfEEv21rocsparse_index_base_iiPKT1_lNS_24const_host_device_scalarIS2_EEPS2_PKiPib.private_seg_size, 0
	.set _ZN9rocsparseL22prune_dense2csr_kernelILi16ELi64EfEEv21rocsparse_index_base_iiPKT1_lNS_24const_host_device_scalarIS2_EEPS2_PKiPib.uses_vcc, 1
	.set _ZN9rocsparseL22prune_dense2csr_kernelILi16ELi64EfEEv21rocsparse_index_base_iiPKT1_lNS_24const_host_device_scalarIS2_EEPS2_PKiPib.uses_flat_scratch, 0
	.set _ZN9rocsparseL22prune_dense2csr_kernelILi16ELi64EfEEv21rocsparse_index_base_iiPKT1_lNS_24const_host_device_scalarIS2_EEPS2_PKiPib.has_dyn_sized_stack, 0
	.set _ZN9rocsparseL22prune_dense2csr_kernelILi16ELi64EfEEv21rocsparse_index_base_iiPKT1_lNS_24const_host_device_scalarIS2_EEPS2_PKiPib.has_recursion, 0
	.set _ZN9rocsparseL22prune_dense2csr_kernelILi16ELi64EfEEv21rocsparse_index_base_iiPKT1_lNS_24const_host_device_scalarIS2_EEPS2_PKiPib.has_indirect_call, 0
	.section	.AMDGPU.csdata,"",@progbits
; Kernel info:
; codeLenInByte = 456
; TotalNumSgprs: 22
; NumVgprs: 14
; ScratchSize: 0
; MemoryBound: 0
; FloatMode: 240
; IeeeMode: 1
; LDSByteSize: 0 bytes/workgroup (compile time only)
; SGPRBlocks: 2
; VGPRBlocks: 3
; NumSGPRsForWavesPerEU: 22
; NumVGPRsForWavesPerEU: 14
; Occupancy: 10
; WaveLimiterHint : 0
; COMPUTE_PGM_RSRC2:SCRATCH_EN: 0
; COMPUTE_PGM_RSRC2:USER_SGPR: 6
; COMPUTE_PGM_RSRC2:TRAP_HANDLER: 0
; COMPUTE_PGM_RSRC2:TGID_X_EN: 1
; COMPUTE_PGM_RSRC2:TGID_Y_EN: 0
; COMPUTE_PGM_RSRC2:TGID_Z_EN: 0
; COMPUTE_PGM_RSRC2:TIDIG_COMP_CNT: 0
	.section	.text._ZN9rocsparseL22prune_dense2csr_kernelILi8ELi32EdEEv21rocsparse_index_base_iiPKT1_lNS_24const_host_device_scalarIS2_EEPS2_PKiPib,"axG",@progbits,_ZN9rocsparseL22prune_dense2csr_kernelILi8ELi32EdEEv21rocsparse_index_base_iiPKT1_lNS_24const_host_device_scalarIS2_EEPS2_PKiPib,comdat
	.globl	_ZN9rocsparseL22prune_dense2csr_kernelILi8ELi32EdEEv21rocsparse_index_base_iiPKT1_lNS_24const_host_device_scalarIS2_EEPS2_PKiPib ; -- Begin function _ZN9rocsparseL22prune_dense2csr_kernelILi8ELi32EdEEv21rocsparse_index_base_iiPKT1_lNS_24const_host_device_scalarIS2_EEPS2_PKiPib
	.p2align	8
	.type	_ZN9rocsparseL22prune_dense2csr_kernelILi8ELi32EdEEv21rocsparse_index_base_iiPKT1_lNS_24const_host_device_scalarIS2_EEPS2_PKiPib,@function
_ZN9rocsparseL22prune_dense2csr_kernelILi8ELi32EdEEv21rocsparse_index_base_iiPKT1_lNS_24const_host_device_scalarIS2_EEPS2_PKiPib: ; @_ZN9rocsparseL22prune_dense2csr_kernelILi8ELi32EdEEv21rocsparse_index_base_iiPKT1_lNS_24const_host_device_scalarIS2_EEPS2_PKiPib
; %bb.0:
	s_load_dword s0, s[4:5], 0x40
	s_load_dwordx4 s[12:15], s[4:5], 0x18
	s_waitcnt lgkmcnt(0)
	s_bitcmp1_b32 s0, 0
	s_cselect_b64 s[0:1], -1, 0
	v_mov_b32_e32 v1, s14
	s_and_b64 vcc, exec, s[0:1]
	v_mov_b32_e32 v2, s15
	s_cbranch_vccnz .LBB5_2
; %bb.1:
	v_mov_b32_e32 v1, s14
	v_mov_b32_e32 v2, s15
	flat_load_dwordx2 v[1:2], v[1:2]
.LBB5_2:
	s_load_dwordx4 s[0:3], s[4:5], 0x0
	v_lshrrev_b32_e32 v3, 5, v0
	v_lshl_or_b32 v3, s6, 3, v3
	s_waitcnt lgkmcnt(0)
	v_cmp_gt_i32_e32 vcc, s1, v3
	s_and_saveexec_b64 s[6:7], vcc
	s_cbranch_execz .LBB5_8
; %bb.3:
	v_and_b32_e32 v0, 31, v0
	v_cmp_gt_i32_e32 vcc, s2, v0
	s_and_b64 exec, exec, vcc
	s_cbranch_execz .LBB5_8
; %bb.4:
	s_load_dwordx4 s[8:11], s[4:5], 0x28
	v_ashrrev_i32_e32 v4, 31, v3
	v_lshlrev_b64 v[5:6], 2, v[3:4]
	v_mbcnt_lo_u32_b32 v8, -1, 0
	v_mbcnt_hi_u32_b32 v8, -1, v8
	s_waitcnt lgkmcnt(0)
	v_mov_b32_e32 v7, s11
	v_add_co_u32_e32 v5, vcc, s10, v5
	v_addc_co_u32_e32 v6, vcc, v7, v6, vcc
	global_load_dword v11, v[5:6], off
	s_load_dwordx2 s[10:11], s[4:5], 0x10
	s_load_dwordx2 s[6:7], s[4:5], 0x38
	v_mad_u64_u32 v[5:6], s[4:5], s12, v0, 0
	v_xor_b32_e32 v7, 31, v0
	v_lshrrev_b32_e64 v7, v7, -1
	s_lshl_b64 s[4:5], s[12:13], 8
	v_mad_u64_u32 v[9:10], s[12:13], s13, v0, v[6:7]
	v_lshlrev_b32_e32 v8, 2, v8
	v_and_b32_e32 v6, 0x100, v8
	v_or_b32_e32 v8, 0x7c, v6
	v_mov_b32_e32 v6, v9
	v_lshlrev_b64 v[3:4], 3, v[3:4]
	v_lshlrev_b64 v[5:6], 3, v[5:6]
	s_waitcnt lgkmcnt(0)
	v_mov_b32_e32 v10, s11
	v_add_co_u32_e32 v3, vcc, v5, v3
	v_addc_co_u32_e32 v4, vcc, v6, v4, vcc
	v_add_co_u32_e32 v3, vcc, s10, v3
	v_addc_co_u32_e32 v4, vcc, v10, v4, vcc
	s_mov_b64 s[10:11], 0
	s_waitcnt vmcnt(0)
	v_subrev_u32_e32 v9, s0, v11
	s_branch .LBB5_6
.LBB5_5:                                ;   in Loop: Header=BB5_6 Depth=1
	s_or_b64 exec, exec, s[12:13]
	ds_bpermute_b32 v5, v8, v10
	v_add_u32_e32 v0, 32, v0
	v_cmp_le_i32_e32 vcc, s2, v0
	v_mov_b32_e32 v6, s5
	s_or_b64 s[10:11], vcc, s[10:11]
	v_add_co_u32_e32 v3, vcc, s4, v3
	s_waitcnt lgkmcnt(0)
	v_add_u32_e32 v9, v5, v9
	v_addc_co_u32_e32 v4, vcc, v4, v6, vcc
	s_andn2_b64 exec, exec, s[10:11]
	s_cbranch_execz .LBB5_8
.LBB5_6:                                ; =>This Inner Loop Header: Depth=1
	s_waitcnt vmcnt(0)
	s_barrier
	global_load_dwordx2 v[5:6], v[3:4], off
	s_waitcnt vmcnt(0)
	v_cmp_gt_f64_e64 s[14:15], |v[5:6]|, v[1:2]
	v_and_b32_e32 v10, s14, v7
	v_bcnt_u32_b32 v10, v10, 0
	s_and_saveexec_b64 s[12:13], s[14:15]
	s_cbranch_execz .LBB5_5
; %bb.7:                                ;   in Loop: Header=BB5_6 Depth=1
	v_ashrrev_i32_e32 v12, 31, v9
	v_add_co_u32_e32 v11, vcc, v9, v10
	v_addc_co_u32_e32 v12, vcc, 0, v12, vcc
	v_lshlrev_b64 v[13:14], 3, v[11:12]
	v_mov_b32_e32 v15, s9
	v_add_co_u32_e32 v13, vcc, s8, v13
	v_addc_co_u32_e32 v14, vcc, v15, v14, vcc
	global_store_dwordx2 v[13:14], v[5:6], off offset:-8
	v_lshlrev_b64 v[5:6], 2, v[11:12]
	v_mov_b32_e32 v11, s7
	v_add_co_u32_e32 v5, vcc, s6, v5
	v_add_u32_e32 v13, s0, v0
	v_addc_co_u32_e32 v6, vcc, v11, v6, vcc
	global_store_dword v[5:6], v13, off offset:-4
	s_branch .LBB5_5
.LBB5_8:
	s_endpgm
	.section	.rodata,"a",@progbits
	.p2align	6, 0x0
	.amdhsa_kernel _ZN9rocsparseL22prune_dense2csr_kernelILi8ELi32EdEEv21rocsparse_index_base_iiPKT1_lNS_24const_host_device_scalarIS2_EEPS2_PKiPib
		.amdhsa_group_segment_fixed_size 0
		.amdhsa_private_segment_fixed_size 0
		.amdhsa_kernarg_size 68
		.amdhsa_user_sgpr_count 6
		.amdhsa_user_sgpr_private_segment_buffer 1
		.amdhsa_user_sgpr_dispatch_ptr 0
		.amdhsa_user_sgpr_queue_ptr 0
		.amdhsa_user_sgpr_kernarg_segment_ptr 1
		.amdhsa_user_sgpr_dispatch_id 0
		.amdhsa_user_sgpr_flat_scratch_init 0
		.amdhsa_user_sgpr_private_segment_size 0
		.amdhsa_uses_dynamic_stack 0
		.amdhsa_system_sgpr_private_segment_wavefront_offset 0
		.amdhsa_system_sgpr_workgroup_id_x 1
		.amdhsa_system_sgpr_workgroup_id_y 0
		.amdhsa_system_sgpr_workgroup_id_z 0
		.amdhsa_system_sgpr_workgroup_info 0
		.amdhsa_system_vgpr_workitem_id 0
		.amdhsa_next_free_vgpr 16
		.amdhsa_next_free_sgpr 16
		.amdhsa_reserve_vcc 1
		.amdhsa_reserve_flat_scratch 0
		.amdhsa_float_round_mode_32 0
		.amdhsa_float_round_mode_16_64 0
		.amdhsa_float_denorm_mode_32 3
		.amdhsa_float_denorm_mode_16_64 3
		.amdhsa_dx10_clamp 1
		.amdhsa_ieee_mode 1
		.amdhsa_fp16_overflow 0
		.amdhsa_exception_fp_ieee_invalid_op 0
		.amdhsa_exception_fp_denorm_src 0
		.amdhsa_exception_fp_ieee_div_zero 0
		.amdhsa_exception_fp_ieee_overflow 0
		.amdhsa_exception_fp_ieee_underflow 0
		.amdhsa_exception_fp_ieee_inexact 0
		.amdhsa_exception_int_div_zero 0
	.end_amdhsa_kernel
	.section	.text._ZN9rocsparseL22prune_dense2csr_kernelILi8ELi32EdEEv21rocsparse_index_base_iiPKT1_lNS_24const_host_device_scalarIS2_EEPS2_PKiPib,"axG",@progbits,_ZN9rocsparseL22prune_dense2csr_kernelILi8ELi32EdEEv21rocsparse_index_base_iiPKT1_lNS_24const_host_device_scalarIS2_EEPS2_PKiPib,comdat
.Lfunc_end5:
	.size	_ZN9rocsparseL22prune_dense2csr_kernelILi8ELi32EdEEv21rocsparse_index_base_iiPKT1_lNS_24const_host_device_scalarIS2_EEPS2_PKiPib, .Lfunc_end5-_ZN9rocsparseL22prune_dense2csr_kernelILi8ELi32EdEEv21rocsparse_index_base_iiPKT1_lNS_24const_host_device_scalarIS2_EEPS2_PKiPib
                                        ; -- End function
	.set _ZN9rocsparseL22prune_dense2csr_kernelILi8ELi32EdEEv21rocsparse_index_base_iiPKT1_lNS_24const_host_device_scalarIS2_EEPS2_PKiPib.num_vgpr, 16
	.set _ZN9rocsparseL22prune_dense2csr_kernelILi8ELi32EdEEv21rocsparse_index_base_iiPKT1_lNS_24const_host_device_scalarIS2_EEPS2_PKiPib.num_agpr, 0
	.set _ZN9rocsparseL22prune_dense2csr_kernelILi8ELi32EdEEv21rocsparse_index_base_iiPKT1_lNS_24const_host_device_scalarIS2_EEPS2_PKiPib.numbered_sgpr, 16
	.set _ZN9rocsparseL22prune_dense2csr_kernelILi8ELi32EdEEv21rocsparse_index_base_iiPKT1_lNS_24const_host_device_scalarIS2_EEPS2_PKiPib.num_named_barrier, 0
	.set _ZN9rocsparseL22prune_dense2csr_kernelILi8ELi32EdEEv21rocsparse_index_base_iiPKT1_lNS_24const_host_device_scalarIS2_EEPS2_PKiPib.private_seg_size, 0
	.set _ZN9rocsparseL22prune_dense2csr_kernelILi8ELi32EdEEv21rocsparse_index_base_iiPKT1_lNS_24const_host_device_scalarIS2_EEPS2_PKiPib.uses_vcc, 1
	.set _ZN9rocsparseL22prune_dense2csr_kernelILi8ELi32EdEEv21rocsparse_index_base_iiPKT1_lNS_24const_host_device_scalarIS2_EEPS2_PKiPib.uses_flat_scratch, 0
	.set _ZN9rocsparseL22prune_dense2csr_kernelILi8ELi32EdEEv21rocsparse_index_base_iiPKT1_lNS_24const_host_device_scalarIS2_EEPS2_PKiPib.has_dyn_sized_stack, 0
	.set _ZN9rocsparseL22prune_dense2csr_kernelILi8ELi32EdEEv21rocsparse_index_base_iiPKT1_lNS_24const_host_device_scalarIS2_EEPS2_PKiPib.has_recursion, 0
	.set _ZN9rocsparseL22prune_dense2csr_kernelILi8ELi32EdEEv21rocsparse_index_base_iiPKT1_lNS_24const_host_device_scalarIS2_EEPS2_PKiPib.has_indirect_call, 0
	.section	.AMDGPU.csdata,"",@progbits
; Kernel info:
; codeLenInByte = 480
; TotalNumSgprs: 20
; NumVgprs: 16
; ScratchSize: 0
; MemoryBound: 0
; FloatMode: 240
; IeeeMode: 1
; LDSByteSize: 0 bytes/workgroup (compile time only)
; SGPRBlocks: 2
; VGPRBlocks: 3
; NumSGPRsForWavesPerEU: 20
; NumVGPRsForWavesPerEU: 16
; Occupancy: 10
; WaveLimiterHint : 0
; COMPUTE_PGM_RSRC2:SCRATCH_EN: 0
; COMPUTE_PGM_RSRC2:USER_SGPR: 6
; COMPUTE_PGM_RSRC2:TRAP_HANDLER: 0
; COMPUTE_PGM_RSRC2:TGID_X_EN: 1
; COMPUTE_PGM_RSRC2:TGID_Y_EN: 0
; COMPUTE_PGM_RSRC2:TGID_Z_EN: 0
; COMPUTE_PGM_RSRC2:TIDIG_COMP_CNT: 0
	.section	.text._ZN9rocsparseL22prune_dense2csr_kernelILi8ELi64EdEEv21rocsparse_index_base_iiPKT1_lNS_24const_host_device_scalarIS2_EEPS2_PKiPib,"axG",@progbits,_ZN9rocsparseL22prune_dense2csr_kernelILi8ELi64EdEEv21rocsparse_index_base_iiPKT1_lNS_24const_host_device_scalarIS2_EEPS2_PKiPib,comdat
	.globl	_ZN9rocsparseL22prune_dense2csr_kernelILi8ELi64EdEEv21rocsparse_index_base_iiPKT1_lNS_24const_host_device_scalarIS2_EEPS2_PKiPib ; -- Begin function _ZN9rocsparseL22prune_dense2csr_kernelILi8ELi64EdEEv21rocsparse_index_base_iiPKT1_lNS_24const_host_device_scalarIS2_EEPS2_PKiPib
	.p2align	8
	.type	_ZN9rocsparseL22prune_dense2csr_kernelILi8ELi64EdEEv21rocsparse_index_base_iiPKT1_lNS_24const_host_device_scalarIS2_EEPS2_PKiPib,@function
_ZN9rocsparseL22prune_dense2csr_kernelILi8ELi64EdEEv21rocsparse_index_base_iiPKT1_lNS_24const_host_device_scalarIS2_EEPS2_PKiPib: ; @_ZN9rocsparseL22prune_dense2csr_kernelILi8ELi64EdEEv21rocsparse_index_base_iiPKT1_lNS_24const_host_device_scalarIS2_EEPS2_PKiPib
; %bb.0:
	s_load_dword s0, s[4:5], 0x40
	s_load_dwordx4 s[12:15], s[4:5], 0x18
	s_waitcnt lgkmcnt(0)
	s_bitcmp1_b32 s0, 0
	s_cselect_b64 s[0:1], -1, 0
	v_mov_b32_e32 v1, s14
	s_and_b64 vcc, exec, s[0:1]
	v_mov_b32_e32 v2, s15
	s_cbranch_vccnz .LBB6_2
; %bb.1:
	v_mov_b32_e32 v1, s14
	v_mov_b32_e32 v2, s15
	flat_load_dwordx2 v[1:2], v[1:2]
.LBB6_2:
	s_load_dwordx4 s[0:3], s[4:5], 0x0
	v_lshrrev_b32_e32 v3, 6, v0
	v_lshl_or_b32 v5, s6, 3, v3
	s_waitcnt lgkmcnt(0)
	v_cmp_gt_i32_e32 vcc, s1, v5
	s_and_saveexec_b64 s[6:7], vcc
	s_cbranch_execz .LBB6_8
; %bb.3:
	v_and_b32_e32 v0, 63, v0
	v_cmp_gt_i32_e32 vcc, s2, v0
	s_and_b64 exec, exec, vcc
	s_cbranch_execz .LBB6_8
; %bb.4:
	s_load_dwordx4 s[8:11], s[4:5], 0x28
	v_ashrrev_i32_e32 v6, 31, v5
	v_lshlrev_b64 v[3:4], 2, v[5:6]
	v_mbcnt_lo_u32_b32 v9, -1, 0
	v_mbcnt_hi_u32_b32 v12, -1, v9
	s_waitcnt lgkmcnt(0)
	v_mov_b32_e32 v7, s11
	v_add_co_u32_e32 v3, vcc, s10, v3
	v_addc_co_u32_e32 v4, vcc, v7, v4, vcc
	global_load_dword v10, v[3:4], off
	s_load_dwordx2 s[10:11], s[4:5], 0x10
	s_load_dwordx2 s[6:7], s[4:5], 0x38
	v_mad_u64_u32 v[7:8], s[4:5], s12, v0, 0
	s_lshl_b64 s[4:5], s[12:13], 9
	v_lshlrev_b64 v[5:6], 3, v[5:6]
	v_mad_u64_u32 v[8:9], s[12:13], s13, v0, v[8:9]
	v_xor_b32_e32 v3, 63, v0
	v_bfrev_b32_e32 v11, 0.5
	v_lshlrev_b64 v[7:8], 3, v[7:8]
	v_lshrrev_b64 v[3:4], v3, -1
	v_add_co_u32_e32 v5, vcc, v7, v5
	v_addc_co_u32_e32 v6, vcc, v8, v6, vcc
	v_lshl_or_b32 v9, v12, 2, v11
	s_waitcnt lgkmcnt(0)
	v_mov_b32_e32 v11, s11
	v_add_co_u32_e32 v5, vcc, s10, v5
	v_addc_co_u32_e32 v6, vcc, v11, v6, vcc
	s_mov_b64 s[10:11], 0
	s_waitcnt vmcnt(0)
	v_subrev_u32_e32 v10, s0, v10
	s_branch .LBB6_6
.LBB6_5:                                ;   in Loop: Header=BB6_6 Depth=1
	s_or_b64 exec, exec, s[12:13]
	ds_bpermute_b32 v7, v9, v11
	v_add_u32_e32 v0, 64, v0
	v_cmp_le_i32_e32 vcc, s2, v0
	v_mov_b32_e32 v8, s5
	s_or_b64 s[10:11], vcc, s[10:11]
	v_add_co_u32_e32 v5, vcc, s4, v5
	s_waitcnt lgkmcnt(0)
	v_add_u32_e32 v10, v7, v10
	v_addc_co_u32_e32 v6, vcc, v6, v8, vcc
	s_andn2_b64 exec, exec, s[10:11]
	s_cbranch_execz .LBB6_8
.LBB6_6:                                ; =>This Inner Loop Header: Depth=1
	s_waitcnt vmcnt(0)
	s_barrier
	global_load_dwordx2 v[7:8], v[5:6], off
	s_waitcnt vmcnt(0)
	v_cmp_gt_f64_e64 s[14:15], |v[7:8]|, v[1:2]
	v_and_b32_e32 v12, s14, v3
	v_and_b32_e32 v11, s15, v4
	v_bcnt_u32_b32 v12, v12, 0
	v_bcnt_u32_b32 v11, v11, v12
	s_and_saveexec_b64 s[12:13], s[14:15]
	s_cbranch_execz .LBB6_5
; %bb.7:                                ;   in Loop: Header=BB6_6 Depth=1
	v_ashrrev_i32_e32 v13, 31, v10
	v_add_co_u32_e32 v12, vcc, v10, v11
	v_addc_co_u32_e32 v13, vcc, 0, v13, vcc
	v_lshlrev_b64 v[14:15], 3, v[12:13]
	v_mov_b32_e32 v16, s9
	v_add_co_u32_e32 v14, vcc, s8, v14
	v_addc_co_u32_e32 v15, vcc, v16, v15, vcc
	global_store_dwordx2 v[14:15], v[7:8], off offset:-8
	v_lshlrev_b64 v[7:8], 2, v[12:13]
	v_mov_b32_e32 v12, s7
	v_add_co_u32_e32 v7, vcc, s6, v7
	v_add_u32_e32 v14, s0, v0
	v_addc_co_u32_e32 v8, vcc, v12, v8, vcc
	global_store_dword v[7:8], v14, off offset:-4
	s_branch .LBB6_5
.LBB6_8:
	s_endpgm
	.section	.rodata,"a",@progbits
	.p2align	6, 0x0
	.amdhsa_kernel _ZN9rocsparseL22prune_dense2csr_kernelILi8ELi64EdEEv21rocsparse_index_base_iiPKT1_lNS_24const_host_device_scalarIS2_EEPS2_PKiPib
		.amdhsa_group_segment_fixed_size 0
		.amdhsa_private_segment_fixed_size 0
		.amdhsa_kernarg_size 68
		.amdhsa_user_sgpr_count 6
		.amdhsa_user_sgpr_private_segment_buffer 1
		.amdhsa_user_sgpr_dispatch_ptr 0
		.amdhsa_user_sgpr_queue_ptr 0
		.amdhsa_user_sgpr_kernarg_segment_ptr 1
		.amdhsa_user_sgpr_dispatch_id 0
		.amdhsa_user_sgpr_flat_scratch_init 0
		.amdhsa_user_sgpr_private_segment_size 0
		.amdhsa_uses_dynamic_stack 0
		.amdhsa_system_sgpr_private_segment_wavefront_offset 0
		.amdhsa_system_sgpr_workgroup_id_x 1
		.amdhsa_system_sgpr_workgroup_id_y 0
		.amdhsa_system_sgpr_workgroup_id_z 0
		.amdhsa_system_sgpr_workgroup_info 0
		.amdhsa_system_vgpr_workitem_id 0
		.amdhsa_next_free_vgpr 17
		.amdhsa_next_free_sgpr 16
		.amdhsa_reserve_vcc 1
		.amdhsa_reserve_flat_scratch 0
		.amdhsa_float_round_mode_32 0
		.amdhsa_float_round_mode_16_64 0
		.amdhsa_float_denorm_mode_32 3
		.amdhsa_float_denorm_mode_16_64 3
		.amdhsa_dx10_clamp 1
		.amdhsa_ieee_mode 1
		.amdhsa_fp16_overflow 0
		.amdhsa_exception_fp_ieee_invalid_op 0
		.amdhsa_exception_fp_denorm_src 0
		.amdhsa_exception_fp_ieee_div_zero 0
		.amdhsa_exception_fp_ieee_overflow 0
		.amdhsa_exception_fp_ieee_underflow 0
		.amdhsa_exception_fp_ieee_inexact 0
		.amdhsa_exception_int_div_zero 0
	.end_amdhsa_kernel
	.section	.text._ZN9rocsparseL22prune_dense2csr_kernelILi8ELi64EdEEv21rocsparse_index_base_iiPKT1_lNS_24const_host_device_scalarIS2_EEPS2_PKiPib,"axG",@progbits,_ZN9rocsparseL22prune_dense2csr_kernelILi8ELi64EdEEv21rocsparse_index_base_iiPKT1_lNS_24const_host_device_scalarIS2_EEPS2_PKiPib,comdat
.Lfunc_end6:
	.size	_ZN9rocsparseL22prune_dense2csr_kernelILi8ELi64EdEEv21rocsparse_index_base_iiPKT1_lNS_24const_host_device_scalarIS2_EEPS2_PKiPib, .Lfunc_end6-_ZN9rocsparseL22prune_dense2csr_kernelILi8ELi64EdEEv21rocsparse_index_base_iiPKT1_lNS_24const_host_device_scalarIS2_EEPS2_PKiPib
                                        ; -- End function
	.set _ZN9rocsparseL22prune_dense2csr_kernelILi8ELi64EdEEv21rocsparse_index_base_iiPKT1_lNS_24const_host_device_scalarIS2_EEPS2_PKiPib.num_vgpr, 17
	.set _ZN9rocsparseL22prune_dense2csr_kernelILi8ELi64EdEEv21rocsparse_index_base_iiPKT1_lNS_24const_host_device_scalarIS2_EEPS2_PKiPib.num_agpr, 0
	.set _ZN9rocsparseL22prune_dense2csr_kernelILi8ELi64EdEEv21rocsparse_index_base_iiPKT1_lNS_24const_host_device_scalarIS2_EEPS2_PKiPib.numbered_sgpr, 16
	.set _ZN9rocsparseL22prune_dense2csr_kernelILi8ELi64EdEEv21rocsparse_index_base_iiPKT1_lNS_24const_host_device_scalarIS2_EEPS2_PKiPib.num_named_barrier, 0
	.set _ZN9rocsparseL22prune_dense2csr_kernelILi8ELi64EdEEv21rocsparse_index_base_iiPKT1_lNS_24const_host_device_scalarIS2_EEPS2_PKiPib.private_seg_size, 0
	.set _ZN9rocsparseL22prune_dense2csr_kernelILi8ELi64EdEEv21rocsparse_index_base_iiPKT1_lNS_24const_host_device_scalarIS2_EEPS2_PKiPib.uses_vcc, 1
	.set _ZN9rocsparseL22prune_dense2csr_kernelILi8ELi64EdEEv21rocsparse_index_base_iiPKT1_lNS_24const_host_device_scalarIS2_EEPS2_PKiPib.uses_flat_scratch, 0
	.set _ZN9rocsparseL22prune_dense2csr_kernelILi8ELi64EdEEv21rocsparse_index_base_iiPKT1_lNS_24const_host_device_scalarIS2_EEPS2_PKiPib.has_dyn_sized_stack, 0
	.set _ZN9rocsparseL22prune_dense2csr_kernelILi8ELi64EdEEv21rocsparse_index_base_iiPKT1_lNS_24const_host_device_scalarIS2_EEPS2_PKiPib.has_recursion, 0
	.set _ZN9rocsparseL22prune_dense2csr_kernelILi8ELi64EdEEv21rocsparse_index_base_iiPKT1_lNS_24const_host_device_scalarIS2_EEPS2_PKiPib.has_indirect_call, 0
	.section	.AMDGPU.csdata,"",@progbits
; Kernel info:
; codeLenInByte = 480
; TotalNumSgprs: 20
; NumVgprs: 17
; ScratchSize: 0
; MemoryBound: 0
; FloatMode: 240
; IeeeMode: 1
; LDSByteSize: 0 bytes/workgroup (compile time only)
; SGPRBlocks: 2
; VGPRBlocks: 4
; NumSGPRsForWavesPerEU: 20
; NumVGPRsForWavesPerEU: 17
; Occupancy: 10
; WaveLimiterHint : 0
; COMPUTE_PGM_RSRC2:SCRATCH_EN: 0
; COMPUTE_PGM_RSRC2:USER_SGPR: 6
; COMPUTE_PGM_RSRC2:TRAP_HANDLER: 0
; COMPUTE_PGM_RSRC2:TGID_X_EN: 1
; COMPUTE_PGM_RSRC2:TGID_Y_EN: 0
; COMPUTE_PGM_RSRC2:TGID_Z_EN: 0
; COMPUTE_PGM_RSRC2:TIDIG_COMP_CNT: 0
	.section	.AMDGPU.gpr_maximums,"",@progbits
	.set amdgpu.max_num_vgpr, 0
	.set amdgpu.max_num_agpr, 0
	.set amdgpu.max_num_sgpr, 0
	.section	.AMDGPU.csdata,"",@progbits
	.type	__hip_cuid_f50b58f69f867979,@object ; @__hip_cuid_f50b58f69f867979
	.section	.bss,"aw",@nobits
	.globl	__hip_cuid_f50b58f69f867979
__hip_cuid_f50b58f69f867979:
	.byte	0                               ; 0x0
	.size	__hip_cuid_f50b58f69f867979, 1

	.ident	"AMD clang version 22.0.0git (https://github.com/RadeonOpenCompute/llvm-project roc-7.2.4 26084 f58b06dce1f9c15707c5f808fd002e18c2accf7e)"
	.section	".note.GNU-stack","",@progbits
	.addrsig
	.addrsig_sym __hip_cuid_f50b58f69f867979
	.amdgpu_metadata
---
amdhsa.kernels:
  - .args:
      - .offset:         0
        .size:           4
        .value_kind:     by_value
      - .actual_access:  read_only
        .address_space:  global
        .offset:         8
        .size:           8
        .value_kind:     global_buffer
      - .actual_access:  write_only
        .address_space:  global
        .offset:         16
        .size:           8
        .value_kind:     global_buffer
    .group_segment_fixed_size: 0
    .kernarg_segment_align: 8
    .kernarg_segment_size: 24
    .language:       OpenCL C
    .language_version:
      - 2
      - 0
    .max_flat_workgroup_size: 1
    .name:           _ZN9rocsparseL23nnz_total_device_kernelEiPKiPi
    .private_segment_fixed_size: 0
    .sgpr_count:     12
    .sgpr_spill_count: 0
    .symbol:         _ZN9rocsparseL23nnz_total_device_kernelEiPKiPi.kd
    .uniform_work_group_size: 1
    .uses_dynamic_stack: false
    .vgpr_count:     2
    .vgpr_spill_count: 0
    .wavefront_size: 64
  - .args:
      - .offset:         0
        .size:           4
        .value_kind:     by_value
      - .offset:         4
        .size:           4
        .value_kind:     by_value
      - .actual_access:  read_only
        .address_space:  global
        .offset:         8
        .size:           8
        .value_kind:     global_buffer
      - .offset:         16
        .size:           8
        .value_kind:     by_value
      - .offset:         24
        .size:           8
        .value_kind:     by_value
      - .actual_access:  write_only
        .address_space:  global
        .offset:         32
        .size:           8
        .value_kind:     global_buffer
      - .offset:         40
        .size:           1
        .value_kind:     by_value
      - .offset:         48
        .size:           4
        .value_kind:     hidden_block_count_x
      - .offset:         52
        .size:           4
        .value_kind:     hidden_block_count_y
      - .offset:         56
        .size:           4
        .value_kind:     hidden_block_count_z
      - .offset:         60
        .size:           2
        .value_kind:     hidden_group_size_x
      - .offset:         62
        .size:           2
        .value_kind:     hidden_group_size_y
      - .offset:         64
        .size:           2
        .value_kind:     hidden_group_size_z
      - .offset:         66
        .size:           2
        .value_kind:     hidden_remainder_x
      - .offset:         68
        .size:           2
        .value_kind:     hidden_remainder_y
      - .offset:         70
        .size:           2
        .value_kind:     hidden_remainder_z
      - .offset:         88
        .size:           8
        .value_kind:     hidden_global_offset_x
      - .offset:         96
        .size:           8
        .value_kind:     hidden_global_offset_y
      - .offset:         104
        .size:           8
        .value_kind:     hidden_global_offset_z
      - .offset:         112
        .size:           2
        .value_kind:     hidden_grid_dims
    .group_segment_fixed_size: 16384
    .kernarg_segment_align: 8
    .kernarg_segment_size: 304
    .language:       OpenCL C
    .language_version:
      - 2
      - 0
    .max_flat_workgroup_size: 1024
    .name:           _ZN9rocsparseL26prune_dense2csr_nnz_kernelILi64ELi16EfEEviiPKT1_lNS_24const_host_device_scalarIS1_EEPib
    .private_segment_fixed_size: 0
    .sgpr_count:     31
    .sgpr_spill_count: 0
    .symbol:         _ZN9rocsparseL26prune_dense2csr_nnz_kernelILi64ELi16EfEEviiPKT1_lNS_24const_host_device_scalarIS1_EEPib.kd
    .uniform_work_group_size: 1
    .uses_dynamic_stack: false
    .vgpr_count:     24
    .vgpr_spill_count: 0
    .wavefront_size: 64
  - .args:
      - .offset:         0
        .size:           4
        .value_kind:     by_value
      - .offset:         4
        .size:           4
        .value_kind:     by_value
      - .actual_access:  read_only
        .address_space:  global
        .offset:         8
        .size:           8
        .value_kind:     global_buffer
      - .offset:         16
        .size:           8
        .value_kind:     by_value
      - .offset:         24
        .size:           8
        .value_kind:     by_value
      - .actual_access:  write_only
        .address_space:  global
        .offset:         32
        .size:           8
        .value_kind:     global_buffer
      - .offset:         40
        .size:           1
        .value_kind:     by_value
      - .offset:         48
        .size:           4
        .value_kind:     hidden_block_count_x
      - .offset:         52
        .size:           4
        .value_kind:     hidden_block_count_y
      - .offset:         56
        .size:           4
        .value_kind:     hidden_block_count_z
      - .offset:         60
        .size:           2
        .value_kind:     hidden_group_size_x
      - .offset:         62
        .size:           2
        .value_kind:     hidden_group_size_y
      - .offset:         64
        .size:           2
        .value_kind:     hidden_group_size_z
      - .offset:         66
        .size:           2
        .value_kind:     hidden_remainder_x
      - .offset:         68
        .size:           2
        .value_kind:     hidden_remainder_y
      - .offset:         70
        .size:           2
        .value_kind:     hidden_remainder_z
      - .offset:         88
        .size:           8
        .value_kind:     hidden_global_offset_x
      - .offset:         96
        .size:           8
        .value_kind:     hidden_global_offset_y
      - .offset:         104
        .size:           8
        .value_kind:     hidden_global_offset_z
      - .offset:         112
        .size:           2
        .value_kind:     hidden_grid_dims
    .group_segment_fixed_size: 16384
    .kernarg_segment_align: 8
    .kernarg_segment_size: 304
    .language:       OpenCL C
    .language_version:
      - 2
      - 0
    .max_flat_workgroup_size: 1024
    .name:           _ZN9rocsparseL26prune_dense2csr_nnz_kernelILi64ELi16EdEEviiPKT1_lNS_24const_host_device_scalarIS1_EEPib
    .private_segment_fixed_size: 0
    .sgpr_count:     30
    .sgpr_spill_count: 0
    .symbol:         _ZN9rocsparseL26prune_dense2csr_nnz_kernelILi64ELi16EdEEviiPKT1_lNS_24const_host_device_scalarIS1_EEPib.kd
    .uniform_work_group_size: 1
    .uses_dynamic_stack: false
    .vgpr_count:     29
    .vgpr_spill_count: 0
    .wavefront_size: 64
  - .args:
      - .offset:         0
        .size:           4
        .value_kind:     by_value
      - .offset:         4
        .size:           4
        .value_kind:     by_value
      - .offset:         8
        .size:           4
        .value_kind:     by_value
      - .actual_access:  read_only
        .address_space:  global
        .offset:         16
        .size:           8
        .value_kind:     global_buffer
      - .offset:         24
        .size:           8
        .value_kind:     by_value
      - .offset:         32
        .size:           8
        .value_kind:     by_value
      - .actual_access:  write_only
        .address_space:  global
        .offset:         40
        .size:           8
        .value_kind:     global_buffer
      - .actual_access:  read_only
        .address_space:  global
        .offset:         48
        .size:           8
        .value_kind:     global_buffer
      - .actual_access:  write_only
        .address_space:  global
        .offset:         56
        .size:           8
        .value_kind:     global_buffer
      - .offset:         64
        .size:           1
        .value_kind:     by_value
    .group_segment_fixed_size: 0
    .kernarg_segment_align: 8
    .kernarg_segment_size: 68
    .language:       OpenCL C
    .language_version:
      - 2
      - 0
    .max_flat_workgroup_size: 512
    .name:           _ZN9rocsparseL22prune_dense2csr_kernelILi16ELi32EfEEv21rocsparse_index_base_iiPKT1_lNS_24const_host_device_scalarIS2_EEPS2_PKiPib
    .private_segment_fixed_size: 0
    .sgpr_count:     22
    .sgpr_spill_count: 0
    .symbol:         _ZN9rocsparseL22prune_dense2csr_kernelILi16ELi32EfEEv21rocsparse_index_base_iiPKT1_lNS_24const_host_device_scalarIS2_EEPS2_PKiPib.kd
    .uniform_work_group_size: 1
    .uses_dynamic_stack: false
    .vgpr_count:     12
    .vgpr_spill_count: 0
    .wavefront_size: 64
  - .args:
      - .offset:         0
        .size:           4
        .value_kind:     by_value
      - .offset:         4
        .size:           4
        .value_kind:     by_value
      - .offset:         8
        .size:           4
        .value_kind:     by_value
      - .actual_access:  read_only
        .address_space:  global
        .offset:         16
        .size:           8
        .value_kind:     global_buffer
      - .offset:         24
        .size:           8
        .value_kind:     by_value
      - .offset:         32
        .size:           8
        .value_kind:     by_value
      - .actual_access:  write_only
        .address_space:  global
        .offset:         40
        .size:           8
        .value_kind:     global_buffer
      - .actual_access:  read_only
        .address_space:  global
        .offset:         48
        .size:           8
        .value_kind:     global_buffer
      - .actual_access:  write_only
        .address_space:  global
        .offset:         56
        .size:           8
        .value_kind:     global_buffer
      - .offset:         64
        .size:           1
        .value_kind:     by_value
    .group_segment_fixed_size: 0
    .kernarg_segment_align: 8
    .kernarg_segment_size: 68
    .language:       OpenCL C
    .language_version:
      - 2
      - 0
    .max_flat_workgroup_size: 1024
    .name:           _ZN9rocsparseL22prune_dense2csr_kernelILi16ELi64EfEEv21rocsparse_index_base_iiPKT1_lNS_24const_host_device_scalarIS2_EEPS2_PKiPib
    .private_segment_fixed_size: 0
    .sgpr_count:     22
    .sgpr_spill_count: 0
    .symbol:         _ZN9rocsparseL22prune_dense2csr_kernelILi16ELi64EfEEv21rocsparse_index_base_iiPKT1_lNS_24const_host_device_scalarIS2_EEPS2_PKiPib.kd
    .uniform_work_group_size: 1
    .uses_dynamic_stack: false
    .vgpr_count:     14
    .vgpr_spill_count: 0
    .wavefront_size: 64
  - .args:
      - .offset:         0
        .size:           4
        .value_kind:     by_value
      - .offset:         4
        .size:           4
        .value_kind:     by_value
      - .offset:         8
        .size:           4
        .value_kind:     by_value
      - .actual_access:  read_only
        .address_space:  global
        .offset:         16
        .size:           8
        .value_kind:     global_buffer
      - .offset:         24
        .size:           8
        .value_kind:     by_value
      - .offset:         32
        .size:           8
        .value_kind:     by_value
      - .actual_access:  write_only
        .address_space:  global
        .offset:         40
        .size:           8
        .value_kind:     global_buffer
      - .actual_access:  read_only
        .address_space:  global
        .offset:         48
        .size:           8
        .value_kind:     global_buffer
      - .actual_access:  write_only
        .address_space:  global
        .offset:         56
        .size:           8
        .value_kind:     global_buffer
      - .offset:         64
        .size:           1
        .value_kind:     by_value
    .group_segment_fixed_size: 0
    .kernarg_segment_align: 8
    .kernarg_segment_size: 68
    .language:       OpenCL C
    .language_version:
      - 2
      - 0
    .max_flat_workgroup_size: 256
    .name:           _ZN9rocsparseL22prune_dense2csr_kernelILi8ELi32EdEEv21rocsparse_index_base_iiPKT1_lNS_24const_host_device_scalarIS2_EEPS2_PKiPib
    .private_segment_fixed_size: 0
    .sgpr_count:     20
    .sgpr_spill_count: 0
    .symbol:         _ZN9rocsparseL22prune_dense2csr_kernelILi8ELi32EdEEv21rocsparse_index_base_iiPKT1_lNS_24const_host_device_scalarIS2_EEPS2_PKiPib.kd
    .uniform_work_group_size: 1
    .uses_dynamic_stack: false
    .vgpr_count:     16
    .vgpr_spill_count: 0
    .wavefront_size: 64
  - .args:
      - .offset:         0
        .size:           4
        .value_kind:     by_value
      - .offset:         4
        .size:           4
        .value_kind:     by_value
      - .offset:         8
        .size:           4
        .value_kind:     by_value
      - .actual_access:  read_only
        .address_space:  global
        .offset:         16
        .size:           8
        .value_kind:     global_buffer
      - .offset:         24
        .size:           8
        .value_kind:     by_value
      - .offset:         32
        .size:           8
        .value_kind:     by_value
      - .actual_access:  write_only
        .address_space:  global
        .offset:         40
        .size:           8
        .value_kind:     global_buffer
      - .actual_access:  read_only
        .address_space:  global
        .offset:         48
        .size:           8
        .value_kind:     global_buffer
      - .actual_access:  write_only
        .address_space:  global
        .offset:         56
        .size:           8
        .value_kind:     global_buffer
      - .offset:         64
        .size:           1
        .value_kind:     by_value
    .group_segment_fixed_size: 0
    .kernarg_segment_align: 8
    .kernarg_segment_size: 68
    .language:       OpenCL C
    .language_version:
      - 2
      - 0
    .max_flat_workgroup_size: 512
    .name:           _ZN9rocsparseL22prune_dense2csr_kernelILi8ELi64EdEEv21rocsparse_index_base_iiPKT1_lNS_24const_host_device_scalarIS2_EEPS2_PKiPib
    .private_segment_fixed_size: 0
    .sgpr_count:     20
    .sgpr_spill_count: 0
    .symbol:         _ZN9rocsparseL22prune_dense2csr_kernelILi8ELi64EdEEv21rocsparse_index_base_iiPKT1_lNS_24const_host_device_scalarIS2_EEPS2_PKiPib.kd
    .uniform_work_group_size: 1
    .uses_dynamic_stack: false
    .vgpr_count:     17
    .vgpr_spill_count: 0
    .wavefront_size: 64
amdhsa.target:   amdgcn-amd-amdhsa--gfx906
amdhsa.version:
  - 1
  - 2
...

	.end_amdgpu_metadata
